;; amdgpu-corpus repo=vllm-project/vllm kind=triton arch=gfx950 opt=O3 lang=triton
	.amdgcn_target "amdgcn-amd-amdhsa--gfx950"
	.amdhsa_code_object_version 5
	.text
	.globl	scaled_mm_kernel                ; -- Begin function scaled_mm_kernel
	.p2align	8
	.type	scaled_mm_kernel,@function
scaled_mm_kernel:                       ; @scaled_mm_kernel
.Lfunc_begin0:
	.cfi_sections .debug_frame
	.cfi_startproc
; %bb.177:
	.file	1 "/root/src/amdgpu-assembly/repos/vllm-project__vllm/triton_aot_kernels" "triton_scaled_mm_aot.py"
	.loc	1 8 0 prologue_end              ; triton_scaled_mm_aot.py:8:0
	s_load_dwordx2 s[2:3], s[0:1], 0x0
	s_load_dwordx8 s[4:11], s[0:1], 0x8
	s_load_dwordx4 s[12:15], s[0:1], 0x28
	s_waitcnt lgkmcnt(0)
	s_branch .LBB0_0
	.loc	1 0 0 is_stmt 0                 ; :0:0
.Ltmp0:
	.p2align	8
; %bb.178:
.LBB0_0:
	s_mov_b32 s38, s15
.Ltmp1:
	.file	2 "/root/.local/lib/python3.13/site-packages/triton/language" "standard.py"
	.loc	2 43 17 is_stmt 1               ; standard.py:43:17 @[ triton_scaled_mm_aot.py:33:27 ]
	s_add_i32 s15, s15, 63
	.loc	2 43 30 is_stmt 0               ; standard.py:43:30 @[ triton_scaled_mm_aot.py:33:27 ]
	s_ashr_i32 s17, s15, 31
	s_lshr_b32 s17, s17, 26
	s_add_i32 s15, s15, s17
	s_ashr_i32 s17, s15, 6
.Ltmp2:
	.loc	1 35 19 is_stmt 1               ; triton_scaled_mm_aot.py:35:19
	s_abs_i32 s15, s17
	v_cvt_f32_u32_e32 v1, s15
	s_sub_i32 s20, 0, s15
	s_abs_i32 s19, s16
	s_xor_b32 s18, s16, s17
	v_rcp_iflag_f32_e32 v1, v1
	s_ashr_i32 s18, s18, 31
	s_load_dwordx2 s[42:43], s[0:1], 0x38
	s_load_dword s44, s[0:1], 0x40
	v_mul_f32_e32 v1, 0x4f7ffffe, v1
	v_cvt_u32_f32_e32 v1, v1
	.loc	1 83 20                         ; triton_scaled_mm_aot.py:83:20
	v_readfirstlane_b32 s33, v0
	.loc	1 125 21                        ; triton_scaled_mm_aot.py:125:21
	s_and_b32 s58, s33, 0xc0
	.loc	1 46 53                         ; triton_scaled_mm_aot.py:46:53
	v_and_b32_e32 v24, 63, v0
	.loc	1 35 19                         ; triton_scaled_mm_aot.py:35:19
	v_mul_lo_u32 v2, s20, v1
	v_mul_hi_u32 v2, v1, v2
	v_add_u32_e32 v1, v1, v2
	v_mul_hi_u32 v1, s19, v1
	v_mul_lo_u32 v2, v1, s15
	v_sub_u32_e32 v2, s19, v2
	v_add_u32_e32 v3, 1, v1
	v_subrev_u32_e32 v4, s15, v2
	v_cmp_le_u32_e32 vcc, s15, v2
	s_waitcnt lgkmcnt(0)
	s_ashr_i32 s57, s43, 31
	.loc	1 46 53                         ; triton_scaled_mm_aot.py:46:53
	v_and_b32_e32 v20, 31, v0
	.loc	1 35 19                         ; triton_scaled_mm_aot.py:35:19
	v_cndmask_b32_e32 v1, v1, v3, vcc
	v_cndmask_b32_e32 v2, v2, v4, vcc
	v_add_u32_e32 v3, 1, v1
	v_cmp_le_u32_e32 vcc, s15, v2
	.loc	1 47 28                         ; triton_scaled_mm_aot.py:47:28
	s_ashr_i32 s15, s14, 31
	.loc	1 71 21                         ; triton_scaled_mm_aot.py:71:21
	v_mov_b64_e32 v[4:5], s[2:3]
	.loc	1 35 19                         ; triton_scaled_mm_aot.py:35:19
	v_cndmask_b32_e32 v1, v1, v3, vcc
	v_xor_b32_e32 v1, s18, v1
	v_subrev_u32_e32 v16, s18, v1
	.loc	1 46 25                         ; triton_scaled_mm_aot.py:46:25
	v_lshlrev_b32_e32 v18, 6, v16
	.loc	1 46 53 is_stmt 0               ; triton_scaled_mm_aot.py:46:53
	v_or_b32_e32 v1, s58, v24
	v_lshrrev_b32_e32 v17, 5, v1
	.loc	1 46 40                         ; triton_scaled_mm_aot.py:46:40
	v_ashrrev_i32_e32 v19, 31, v18
	v_or_b32_e32 v2, v18, v17
	v_mov_b32_e32 v3, v19
	.loc	1 47 28 is_stmt 1               ; triton_scaled_mm_aot.py:47:28
	v_cmp_gt_i64_e64 s[30:31], s[14:15], v[2:3]
	.loc	1 71 21                         ; triton_scaled_mm_aot.py:71:21
	v_mad_i64_i32 v[2:3], s[18:19], v2, s43, v[4:5]
.Ltmp3:
	.loc	2 43 17                         ; standard.py:43:17 @[ triton_scaled_mm_aot.py:77:33 ]
	s_add_i32 s59, s42, 31
.Ltmp4:
	.loc	1 53 62                         ; triton_scaled_mm_aot.py:53:62
	v_mad_i64_i32 v[22:23], s[18:19], s44, v20, 0
	.loc	1 71 21                         ; triton_scaled_mm_aot.py:71:21
	v_mad_i64_i32 v[2:3], s[18:19], s44, v20, v[2:3]
	.loc	1 77 22                         ; triton_scaled_mm_aot.py:77:22
	s_cmp_gt_i32 s59, 31
	.loc	1 78 30                         ; triton_scaled_mm_aot.py:78:30
	v_cmp_gt_i32_e32 vcc, s42, v20
	.loc	1 77 22                         ; triton_scaled_mm_aot.py:77:22
	s_cselect_b64 s[40:41], -1, 0
	.loc	1 79 38                         ; triton_scaled_mm_aot.py:79:38
	s_and_b64 s[18:19], vcc, s[30:31]
	s_mov_b32 s56, s43
	.loc	1 77 22                         ; triton_scaled_mm_aot.py:77:22
	s_and_b64 s[20:21], s[40:41], s[18:19]
	v_mov_b32_e32 v21, 0
	v_mov_b32_e32 v44, 0
	.loc	1 80 20                         ; triton_scaled_mm_aot.py:80:20
	s_and_saveexec_b64 s[18:19], s[20:21]
	s_cbranch_execz .LBB0_2
; %bb.1:
	global_load_ubyte v44, v[2:3], off
.LBB0_2:
	.loc	1 0 20 is_stmt 0                ; triton_scaled_mm_aot.py:0:20
	s_or_b64 exec, exec, s[18:19]
	.loc	1 46 40 is_stmt 1               ; triton_scaled_mm_aot.py:46:40
	v_or3_b32 v4, v17, v18, 8
	v_mov_b32_e32 v5, v19
	.loc	1 71 21                         ; triton_scaled_mm_aot.py:71:21
	v_mov_b64_e32 v[6:7], s[2:3]
	.loc	1 47 28                         ; triton_scaled_mm_aot.py:47:28
	v_cmp_gt_i64_e64 s[34:35], s[14:15], v[4:5]
	.loc	1 71 21                         ; triton_scaled_mm_aot.py:71:21
	v_mad_i64_i32 v[4:5], s[18:19], v4, s56, v[6:7]
	.loc	1 79 38                         ; triton_scaled_mm_aot.py:79:38
	s_and_b64 s[18:19], vcc, s[34:35]
	.loc	1 71 21                         ; triton_scaled_mm_aot.py:71:21
	v_lshl_add_u64 v[4:5], v[4:5], 0, v[22:23]
	.loc	1 77 22                         ; triton_scaled_mm_aot.py:77:22
	s_and_b64 s[20:21], s[40:41], s[18:19]
	.loc	1 80 20                         ; triton_scaled_mm_aot.py:80:20
	s_and_saveexec_b64 s[18:19], s[20:21]
	s_cbranch_execz .LBB0_4
; %bb.3:
	global_load_ubyte v21, v[4:5], off
.LBB0_4:
	.loc	1 0 20 is_stmt 0                ; triton_scaled_mm_aot.py:0:20
	s_or_b64 exec, exec, s[18:19]
	.loc	1 46 40 is_stmt 1               ; triton_scaled_mm_aot.py:46:40
	v_or3_b32 v6, v17, v18, 16
	v_mov_b32_e32 v7, v19
	.loc	1 71 21                         ; triton_scaled_mm_aot.py:71:21
	v_mov_b64_e32 v[8:9], s[2:3]
	.loc	1 47 28                         ; triton_scaled_mm_aot.py:47:28
	v_cmp_gt_i64_e64 s[36:37], s[14:15], v[6:7]
	.loc	1 71 21                         ; triton_scaled_mm_aot.py:71:21
	v_mad_i64_i32 v[6:7], s[18:19], v6, s56, v[8:9]
	.loc	1 79 38                         ; triton_scaled_mm_aot.py:79:38
	s_and_b64 s[18:19], vcc, s[36:37]
	.loc	1 71 21                         ; triton_scaled_mm_aot.py:71:21
	v_lshl_add_u64 v[6:7], v[6:7], 0, v[22:23]
	.loc	1 77 22                         ; triton_scaled_mm_aot.py:77:22
	s_and_b64 s[20:21], s[40:41], s[18:19]
	v_mov_b32_e32 v45, 0
	v_mov_b32_e32 v46, 0
	.loc	1 80 20                         ; triton_scaled_mm_aot.py:80:20
	s_and_saveexec_b64 s[18:19], s[20:21]
	s_cbranch_execz .LBB0_6
; %bb.5:
	global_load_ubyte v46, v[6:7], off
.LBB0_6:
	.loc	1 0 20 is_stmt 0                ; triton_scaled_mm_aot.py:0:20
	s_or_b64 exec, exec, s[18:19]
	.loc	1 46 40 is_stmt 1               ; triton_scaled_mm_aot.py:46:40
	v_or3_b32 v8, v17, v18, 24
	v_mov_b32_e32 v9, v19
	.loc	1 71 21                         ; triton_scaled_mm_aot.py:71:21
	v_mov_b64_e32 v[10:11], s[2:3]
	.loc	1 47 28                         ; triton_scaled_mm_aot.py:47:28
	v_cmp_gt_i64_e64 s[18:19], s[14:15], v[8:9]
	.loc	1 71 21                         ; triton_scaled_mm_aot.py:71:21
	v_mad_i64_i32 v[8:9], s[20:21], v8, s56, v[10:11]
	.loc	1 79 38                         ; triton_scaled_mm_aot.py:79:38
	s_and_b64 s[20:21], vcc, s[18:19]
	.loc	1 71 21                         ; triton_scaled_mm_aot.py:71:21
	v_lshl_add_u64 v[8:9], v[8:9], 0, v[22:23]
	.loc	1 77 22                         ; triton_scaled_mm_aot.py:77:22
	s_and_b64 s[22:23], s[40:41], s[20:21]
	.loc	1 80 20                         ; triton_scaled_mm_aot.py:80:20
	s_and_saveexec_b64 s[20:21], s[22:23]
	s_cbranch_execz .LBB0_8
; %bb.7:
	global_load_ubyte v45, v[8:9], off
.LBB0_8:
	.loc	1 0 20 is_stmt 0                ; triton_scaled_mm_aot.py:0:20
	s_or_b64 exec, exec, s[20:21]
	.loc	1 46 40 is_stmt 1               ; triton_scaled_mm_aot.py:46:40
	v_or3_b32 v10, v17, v18, 32
	v_mov_b32_e32 v11, v19
	.loc	1 71 21                         ; triton_scaled_mm_aot.py:71:21
	v_mov_b64_e32 v[12:13], s[2:3]
	.loc	1 47 28                         ; triton_scaled_mm_aot.py:47:28
	v_cmp_gt_i64_e64 s[20:21], s[14:15], v[10:11]
	.loc	1 71 21                         ; triton_scaled_mm_aot.py:71:21
	v_mad_i64_i32 v[10:11], s[22:23], v10, s56, v[12:13]
	.loc	1 79 38                         ; triton_scaled_mm_aot.py:79:38
	s_and_b64 s[22:23], vcc, s[20:21]
	.loc	1 71 21                         ; triton_scaled_mm_aot.py:71:21
	v_lshl_add_u64 v[10:11], v[10:11], 0, v[22:23]
	;; [unrolled: 48-line block ×3, first 2 shown]
	.loc	1 77 22                         ; triton_scaled_mm_aot.py:77:22
	s_and_b64 s[28:29], s[40:41], s[26:27]
	v_mov_b32_e32 v25, 0
	v_mov_b32_e32 v49, 0
	.loc	1 80 20                         ; triton_scaled_mm_aot.py:80:20
	s_and_saveexec_b64 s[26:27], s[28:29]
	s_cbranch_execz .LBB0_14
; %bb.13:
	global_load_ubyte v49, v[14:15], off
.LBB0_14:
	.loc	1 0 20 is_stmt 0                ; triton_scaled_mm_aot.py:0:20
	s_or_b64 exec, exec, s[26:27]
	s_load_dwordx2 s[46:47], s[0:1], 0x44
	.loc	1 46 40 is_stmt 1               ; triton_scaled_mm_aot.py:46:40
	v_or3_b32 v26, v17, v18, 56
	v_mov_b32_e32 v27, v19
	.loc	1 71 21                         ; triton_scaled_mm_aot.py:71:21
	v_mov_b64_e32 v[28:29], s[2:3]
	.loc	1 47 28                         ; triton_scaled_mm_aot.py:47:28
	v_cmp_gt_i64_e64 s[26:27], s[14:15], v[26:27]
	.loc	1 71 21                         ; triton_scaled_mm_aot.py:71:21
	v_mad_i64_i32 v[26:27], s[28:29], v26, s56, v[28:29]
	.loc	1 79 38                         ; triton_scaled_mm_aot.py:79:38
	s_and_b64 s[28:29], vcc, s[26:27]
	.loc	1 71 21                         ; triton_scaled_mm_aot.py:71:21
	v_lshl_add_u64 v[26:27], v[26:27], 0, v[22:23]
	.loc	1 77 22                         ; triton_scaled_mm_aot.py:77:22
	s_and_b64 s[48:49], s[40:41], s[28:29]
	v_mov_b32_e32 v50, 0
	.loc	1 80 20                         ; triton_scaled_mm_aot.py:80:20
	s_and_saveexec_b64 s[28:29], s[48:49]
	s_cbranch_execz .LBB0_16
; %bb.15:
	global_load_ubyte v50, v[26:27], off
.LBB0_16:
	.loc	1 0 20 is_stmt 0                ; triton_scaled_mm_aot.py:0:20
	s_or_b64 exec, exec, s[28:29]
	.loc	1 36 18 is_stmt 1               ; triton_scaled_mm_aot.py:36:18
	v_mul_lo_u32 v16, v16, s17
	v_sub_u32_e32 v16, s16, v16
	.loc	1 49 25                         ; triton_scaled_mm_aot.py:49:25
	v_lshlrev_b32_e32 v16, 6, v16
	.loc	1 49 40 is_stmt 0               ; triton_scaled_mm_aot.py:49:40
	v_or_b32_e32 v28, v16, v24
	.loc	1 52 29 is_stmt 1               ; triton_scaled_mm_aot.py:52:29
	s_lshr_b32 s55, s58, 6
	.loc	1 50 28                         ; triton_scaled_mm_aot.py:50:28
	s_ashr_i32 s39, s38, 31
	.loc	1 54 28                         ; triton_scaled_mm_aot.py:54:28
	s_waitcnt lgkmcnt(0)
	s_mul_i32 s61, s55, s46
	.loc	1 54 61 is_stmt 0               ; triton_scaled_mm_aot.py:54:61
	v_mad_i64_i32 v[42:43], s[16:17], v28, s47, 0
	.loc	1 54 28                         ; triton_scaled_mm_aot.py:54:28
	s_mul_hi_i32 s60, s55, s46
	.loc	1 72 21 is_stmt 1               ; triton_scaled_mm_aot.py:72:21
	s_add_u32 s16, s4, s61
	.loc	1 49 40                         ; triton_scaled_mm_aot.py:49:40
	v_ashrrev_i32_e32 v17, 31, v16
	.loc	1 72 21                         ; triton_scaled_mm_aot.py:72:21
	s_addc_u32 s17, s5, s60
	.loc	1 49 40                         ; triton_scaled_mm_aot.py:49:40
	v_mov_b32_e32 v29, v17
	.loc	1 72 21                         ; triton_scaled_mm_aot.py:72:21
	v_mov_b64_e32 v[30:31], s[16:17]
	.loc	1 50 28                         ; triton_scaled_mm_aot.py:50:28
	v_cmp_gt_i64_e64 s[28:29], s[38:39], v[28:29]
	.loc	1 72 21                         ; triton_scaled_mm_aot.py:72:21
	v_mad_i64_i32 v[28:29], s[16:17], v28, s47, v[30:31]
	.loc	1 78 30                         ; triton_scaled_mm_aot.py:78:30
	s_cmp_lt_i32 s55, s42
	s_cselect_b64 s[16:17], -1, 0
	.loc	1 82 37                         ; triton_scaled_mm_aot.py:82:37
	s_and_b64 s[16:17], s[16:17], s[28:29]
	.loc	1 77 22                         ; triton_scaled_mm_aot.py:77:22
	s_and_b64 s[48:49], s[40:41], s[16:17]
	v_mov_b32_e32 v51, 0
	v_mov_b32_e32 v52, 0
	.loc	1 83 20                         ; triton_scaled_mm_aot.py:83:20
	s_and_saveexec_b64 s[16:17], s[48:49]
	s_cbranch_execz .LBB0_18
; %bb.17:
	global_load_ubyte v52, v[28:29], off
.LBB0_18:
	.loc	1 0 20 is_stmt 0                ; triton_scaled_mm_aot.py:0:20
	s_or_b64 exec, exec, s[16:17]
	.loc	1 52 29 is_stmt 1               ; triton_scaled_mm_aot.py:52:29
	s_or_b32 s48, s55, 4
	.loc	1 54 28                         ; triton_scaled_mm_aot.py:54:28
	s_mul_i32 s63, s48, s46
	s_mul_hi_i32 s62, s48, s46
	.loc	1 72 21                         ; triton_scaled_mm_aot.py:72:21
	s_add_u32 s16, s4, s63
	s_addc_u32 s17, s5, s62
	.loc	1 78 30                         ; triton_scaled_mm_aot.py:78:30
	s_cmp_lt_i32 s48, s42
	.loc	1 72 21                         ; triton_scaled_mm_aot.py:72:21
	v_lshl_add_u64 v[30:31], s[16:17], 0, v[42:43]
	.loc	1 78 30                         ; triton_scaled_mm_aot.py:78:30
	s_cselect_b64 s[16:17], -1, 0
	.loc	1 82 37                         ; triton_scaled_mm_aot.py:82:37
	s_and_b64 s[16:17], s[16:17], s[28:29]
	.loc	1 77 22                         ; triton_scaled_mm_aot.py:77:22
	s_and_b64 s[50:51], s[40:41], s[16:17]
	.loc	1 83 20                         ; triton_scaled_mm_aot.py:83:20
	s_and_saveexec_b64 s[16:17], s[50:51]
	s_cbranch_execz .LBB0_20
; %bb.19:
	global_load_ubyte v51, v[30:31], off
.LBB0_20:
	.loc	1 0 20 is_stmt 0                ; triton_scaled_mm_aot.py:0:20
	s_or_b64 exec, exec, s[16:17]
	.loc	1 52 29 is_stmt 1               ; triton_scaled_mm_aot.py:52:29
	s_or_b32 s76, s55, 8
	.loc	1 54 28                         ; triton_scaled_mm_aot.py:54:28
	s_mul_i32 s65, s76, s46
	s_mul_hi_i32 s64, s76, s46
	.loc	1 72 21                         ; triton_scaled_mm_aot.py:72:21
	s_add_u32 s16, s4, s65
	s_addc_u32 s17, s5, s64
	.loc	1 78 30                         ; triton_scaled_mm_aot.py:78:30
	s_cmp_lt_i32 s76, s42
	.loc	1 72 21                         ; triton_scaled_mm_aot.py:72:21
	v_lshl_add_u64 v[32:33], s[16:17], 0, v[42:43]
	.loc	1 78 30                         ; triton_scaled_mm_aot.py:78:30
	s_cselect_b64 s[16:17], -1, 0
	.loc	1 82 37                         ; triton_scaled_mm_aot.py:82:37
	s_and_b64 s[16:17], s[16:17], s[28:29]
	.loc	1 77 22                         ; triton_scaled_mm_aot.py:77:22
	s_and_b64 s[50:51], s[40:41], s[16:17]
	v_mov_b32_e32 v53, 0
	v_mov_b32_e32 v54, 0
	.loc	1 83 20                         ; triton_scaled_mm_aot.py:83:20
	s_and_saveexec_b64 s[16:17], s[50:51]
	s_cbranch_execz .LBB0_22
; %bb.21:
	global_load_ubyte v54, v[32:33], off
.LBB0_22:
	.loc	1 0 20 is_stmt 0                ; triton_scaled_mm_aot.py:0:20
	s_or_b64 exec, exec, s[16:17]
	.loc	1 52 29 is_stmt 1               ; triton_scaled_mm_aot.py:52:29
	s_or_b32 s77, s55, 12
	.loc	1 54 28                         ; triton_scaled_mm_aot.py:54:28
	s_mul_i32 s67, s77, s46
	s_mul_hi_i32 s66, s77, s46
	.loc	1 72 21                         ; triton_scaled_mm_aot.py:72:21
	s_add_u32 s16, s4, s67
	s_addc_u32 s17, s5, s66
	.loc	1 78 30                         ; triton_scaled_mm_aot.py:78:30
	s_cmp_lt_i32 s77, s42
	.loc	1 72 21                         ; triton_scaled_mm_aot.py:72:21
	v_lshl_add_u64 v[34:35], s[16:17], 0, v[42:43]
	.loc	1 78 30                         ; triton_scaled_mm_aot.py:78:30
	s_cselect_b64 s[16:17], -1, 0
	.loc	1 82 37                         ; triton_scaled_mm_aot.py:82:37
	s_and_b64 s[16:17], s[16:17], s[28:29]
	.loc	1 77 22                         ; triton_scaled_mm_aot.py:77:22
	s_and_b64 s[50:51], s[40:41], s[16:17]
	.loc	1 83 20                         ; triton_scaled_mm_aot.py:83:20
	s_and_saveexec_b64 s[16:17], s[50:51]
	s_cbranch_execz .LBB0_24
; %bb.23:
	global_load_ubyte v53, v[34:35], off
.LBB0_24:
	.loc	1 0 20 is_stmt 0                ; triton_scaled_mm_aot.py:0:20
	s_or_b64 exec, exec, s[16:17]
	.loc	1 52 29 is_stmt 1               ; triton_scaled_mm_aot.py:52:29
	s_or_b32 s78, s55, 16
	.loc	1 54 28                         ; triton_scaled_mm_aot.py:54:28
	s_mul_i32 s69, s78, s46
	s_mul_hi_i32 s68, s78, s46
	.loc	1 72 21                         ; triton_scaled_mm_aot.py:72:21
	s_add_u32 s16, s4, s69
	s_addc_u32 s17, s5, s68
	.loc	1 78 30                         ; triton_scaled_mm_aot.py:78:30
	s_cmp_lt_i32 s78, s42
	.loc	1 72 21                         ; triton_scaled_mm_aot.py:72:21
	v_lshl_add_u64 v[36:37], s[16:17], 0, v[42:43]
	.loc	1 78 30                         ; triton_scaled_mm_aot.py:78:30
	;; [unrolled: 54-line block ×3, first 2 shown]
	s_cselect_b64 s[16:17], -1, 0
	.loc	1 82 37                         ; triton_scaled_mm_aot.py:82:37
	s_and_b64 s[16:17], s[16:17], s[28:29]
	.loc	1 77 22                         ; triton_scaled_mm_aot.py:77:22
	s_and_b64 s[50:51], s[40:41], s[16:17]
	v_mov_b32_e32 v57, 0
	v_mov_b32_e32 v58, 0
	.loc	1 83 20                         ; triton_scaled_mm_aot.py:83:20
	s_and_saveexec_b64 s[16:17], s[50:51]
	s_cbranch_execz .LBB0_30
; %bb.29:
	global_load_ubyte v58, v[40:41], off
.LBB0_30:
	.loc	1 0 20 is_stmt 0                ; triton_scaled_mm_aot.py:0:20
	s_or_b64 exec, exec, s[16:17]
	.loc	1 52 29 is_stmt 1               ; triton_scaled_mm_aot.py:52:29
	s_or_b32 s81, s55, 28
	.loc	1 54 28                         ; triton_scaled_mm_aot.py:54:28
	s_mul_i32 s75, s81, s46
	s_mul_hi_i32 s74, s81, s46
	.loc	1 72 21                         ; triton_scaled_mm_aot.py:72:21
	s_add_u32 s16, s4, s75
	s_addc_u32 s17, s5, s74
	.loc	1 78 30                         ; triton_scaled_mm_aot.py:78:30
	s_cmp_lt_i32 s81, s42
	.loc	1 72 21                         ; triton_scaled_mm_aot.py:72:21
	v_lshl_add_u64 v[42:43], s[16:17], 0, v[42:43]
	.loc	1 78 30                         ; triton_scaled_mm_aot.py:78:30
	s_cselect_b64 s[16:17], -1, 0
	.loc	1 82 37                         ; triton_scaled_mm_aot.py:82:37
	s_and_b64 s[16:17], s[16:17], s[28:29]
	.loc	1 77 22                         ; triton_scaled_mm_aot.py:77:22
	s_and_b64 s[50:51], s[40:41], s[16:17]
	.loc	1 83 20                         ; triton_scaled_mm_aot.py:83:20
	s_and_saveexec_b64 s[16:17], s[50:51]
	s_cbranch_execz .LBB0_32
; %bb.31:
	global_load_ubyte v57, v[42:43], off
.LBB0_32:
	.loc	1 0 20 is_stmt 0                ; triton_scaled_mm_aot.py:0:20
	s_or_b64 exec, exec, s[16:17]
	.loc	1 80 20 is_stmt 1               ; triton_scaled_mm_aot.py:80:20
	v_add_u32_e32 v60, 0, v1
	s_waitcnt vmcnt(0)
	ds_write_b8 v60, v44
	ds_write_b8 v60, v46 offset:512
	ds_write_b8 v60, v48 offset:1024
	;; [unrolled: 1-line block ×3, first 2 shown]
	v_xor_b32_e32 v44, 16, v1
	v_add_u32_e32 v61, 0, v44
	ds_write_b8 v61, v21 offset:256
	ds_write_b8 v61, v45 offset:768
	;; [unrolled: 1-line block ×4, first 2 shown]
	.loc	1 83 20                         ; triton_scaled_mm_aot.py:83:20
	ds_write_b8 v60, v52 offset:2048
	ds_write_b8 v60, v56 offset:3072
	;; [unrolled: 1-line block ×4, first 2 shown]
	v_xor_b32_e32 v21, 32, v1
	v_xor_b32_e32 v1, 48, v1
	.loc	1 46 53                         ; triton_scaled_mm_aot.py:46:53
	s_lshr_b32 s43, s33, 1
	.loc	1 83 20                         ; triton_scaled_mm_aot.py:83:20
	v_add_u32_e32 v62, 0, v21
	v_add_u32_e32 v63, 0, v1
	ds_write_b8 v62, v54 offset:2560
	ds_write_b8 v62, v58 offset:3584
	;; [unrolled: 1-line block ×4, first 2 shown]
	.loc	1 77 22                         ; triton_scaled_mm_aot.py:77:22
	s_cmp_gt_i32 s59, 63
	v_and_b32_e32 v58, 8, v0
	v_lshlrev_b32_e32 v57, 5, v0
	v_lshlrev_b32_e32 v1, 3, v0
	v_and_b32_e32 v59, 16, v0
	s_cbranch_scc1 .LBB0_34
; %bb.33:                               ; %.._crit_edge_crit_edge
	.loc	1 83 20                         ; triton_scaled_mm_aot.py:83:20
	v_and_b32_e32 v64, 0x4c0, v57
	v_and_b32_e32 v65, 8, v1
	s_mov_b64 s[16:17], 0
	s_branch .LBB0_35
.LBB0_34:
	.loc	1 0 20 is_stmt 0                ; triton_scaled_mm_aot.py:0:20
	s_mov_b64 s[16:17], -1
                                        ; implicit-def: $vgpr64
                                        ; implicit-def: $vgpr65
.LBB0_35:                               ; %Flow354
	s_and_b32 s33, s33, 0x80
	v_and_b32_e32 v56, 32, v0
	s_andn2_b64 vcc, exec, s[16:17]
	s_and_b32 s54, s43, 32
	s_cbranch_vccnz .LBB0_103
; %bb.36:                               ; %.lr.ph
	v_mov_b32_e32 v44, 0
	.loc	1 78 30 is_stmt 1               ; triton_scaled_mm_aot.py:78:30
	s_ashr_i32 s43, s42, 31
	.loc	1 88 21                         ; triton_scaled_mm_aot.py:88:21
	v_or_b32_e32 v46, 32, v20
	v_mov_b32_e32 v47, v44
	.loc	1 89 33                         ; triton_scaled_mm_aot.py:89:33
	s_lshl_b32 s16, s44, 5
	.loc	1 78 30                         ; triton_scaled_mm_aot.py:78:30
	v_cmp_gt_u64_e32 vcc, s[42:43], v[46:47]
	v_mov_b32_e32 v21, v44
	s_ashr_i32 s17, s16, 31
	.loc	1 79 38                         ; triton_scaled_mm_aot.py:79:38
	s_and_b64 s[50:51], s[30:31], vcc
	v_mov_b32_e32 v50, 0
	.loc	1 80 20                         ; triton_scaled_mm_aot.py:80:20
	s_and_saveexec_b64 s[44:45], s[50:51]
	s_cbranch_execz .LBB0_38
; %bb.37:
	.loc	1 89 18                         ; triton_scaled_mm_aot.py:89:18
	v_lshl_add_u64 v[2:3], v[2:3], 0, s[16:17]
	.loc	1 80 20                         ; triton_scaled_mm_aot.py:80:20
	global_load_ubyte v50, v[2:3], off
.LBB0_38:
	.loc	1 0 20 is_stmt 0                ; triton_scaled_mm_aot.py:0:20
	s_or_b64 exec, exec, s[44:45]
	.loc	1 79 38 is_stmt 1               ; triton_scaled_mm_aot.py:79:38
	s_and_b64 s[50:51], s[34:35], vcc
	.loc	1 80 20                         ; triton_scaled_mm_aot.py:80:20
	s_and_saveexec_b64 s[44:45], s[50:51]
	s_cbranch_execz .LBB0_40
; %bb.39:
	.loc	1 89 18                         ; triton_scaled_mm_aot.py:89:18
	v_lshl_add_u64 v[2:3], v[4:5], 0, s[16:17]
	.loc	1 80 20                         ; triton_scaled_mm_aot.py:80:20
	global_load_ubyte v44, v[2:3], off
.LBB0_40:
	.loc	1 0 20 is_stmt 0                ; triton_scaled_mm_aot.py:0:20
	s_or_b64 exec, exec, s[44:45]
	.loc	1 79 38 is_stmt 1               ; triton_scaled_mm_aot.py:79:38
	s_and_b64 s[50:51], s[36:37], vcc
	v_mov_b32_e32 v51, 0
	v_mov_b32_e32 v52, 0
	.loc	1 80 20                         ; triton_scaled_mm_aot.py:80:20
	s_and_saveexec_b64 s[44:45], s[50:51]
	s_cbranch_execz .LBB0_42
; %bb.41:
	.loc	1 89 18                         ; triton_scaled_mm_aot.py:89:18
	v_lshl_add_u64 v[2:3], v[6:7], 0, s[16:17]
	.loc	1 80 20                         ; triton_scaled_mm_aot.py:80:20
	global_load_ubyte v52, v[2:3], off
.LBB0_42:
	.loc	1 0 20 is_stmt 0                ; triton_scaled_mm_aot.py:0:20
	s_or_b64 exec, exec, s[44:45]
	.loc	1 79 38 is_stmt 1               ; triton_scaled_mm_aot.py:79:38
	s_and_b64 s[50:51], s[18:19], vcc
	.loc	1 80 20                         ; triton_scaled_mm_aot.py:80:20
	s_and_saveexec_b64 s[44:45], s[50:51]
	s_cbranch_execz .LBB0_44
; %bb.43:
	.loc	1 89 18                         ; triton_scaled_mm_aot.py:89:18
	v_lshl_add_u64 v[2:3], v[8:9], 0, s[16:17]
	.loc	1 80 20                         ; triton_scaled_mm_aot.py:80:20
	global_load_ubyte v51, v[2:3], off
.LBB0_44:
	.loc	1 0 20 is_stmt 0                ; triton_scaled_mm_aot.py:0:20
	s_or_b64 exec, exec, s[44:45]
	.loc	1 79 38 is_stmt 1               ; triton_scaled_mm_aot.py:79:38
	s_and_b64 s[50:51], s[20:21], vcc
	v_mov_b32_e32 v53, 0
	v_mov_b32_e32 v54, 0
	.loc	1 80 20                         ; triton_scaled_mm_aot.py:80:20
	s_and_saveexec_b64 s[44:45], s[50:51]
	s_cbranch_execz .LBB0_46
; %bb.45:
	.loc	1 89 18                         ; triton_scaled_mm_aot.py:89:18
	v_lshl_add_u64 v[2:3], v[10:11], 0, s[16:17]
	.loc	1 80 20                         ; triton_scaled_mm_aot.py:80:20
	global_load_ubyte v54, v[2:3], off
.LBB0_46:
	.loc	1 0 20 is_stmt 0                ; triton_scaled_mm_aot.py:0:20
	s_or_b64 exec, exec, s[44:45]
	.loc	1 79 38 is_stmt 1               ; triton_scaled_mm_aot.py:79:38
	s_and_b64 s[50:51], s[22:23], vcc
	.loc	1 80 20                         ; triton_scaled_mm_aot.py:80:20
	s_and_saveexec_b64 s[44:45], s[50:51]
	s_cbranch_execz .LBB0_48
; %bb.47:
	.loc	1 89 18                         ; triton_scaled_mm_aot.py:89:18
	v_lshl_add_u64 v[2:3], v[12:13], 0, s[16:17]
	.loc	1 80 20                         ; triton_scaled_mm_aot.py:80:20
	global_load_ubyte v53, v[2:3], off
.LBB0_48:
	.loc	1 0 20 is_stmt 0                ; triton_scaled_mm_aot.py:0:20
	s_or_b64 exec, exec, s[44:45]
	s_mov_b32 s51, 0
	.loc	1 79 38 is_stmt 1               ; triton_scaled_mm_aot.py:79:38
	s_and_b64 s[52:53], s[24:25], vcc
	v_mov_b32_e32 v55, 0
	v_mov_b32_e32 v69, 0
	.loc	1 80 20                         ; triton_scaled_mm_aot.py:80:20
	s_and_saveexec_b64 s[44:45], s[52:53]
	s_cbranch_execz .LBB0_50
; %bb.49:
	.loc	1 89 18                         ; triton_scaled_mm_aot.py:89:18
	v_lshl_add_u64 v[2:3], v[14:15], 0, s[16:17]
	.loc	1 80 20                         ; triton_scaled_mm_aot.py:80:20
	global_load_ubyte v69, v[2:3], off
.LBB0_50:
	.loc	1 0 20 is_stmt 0                ; triton_scaled_mm_aot.py:0:20
	s_or_b64 exec, exec, s[44:45]
	.loc	1 79 38 is_stmt 1               ; triton_scaled_mm_aot.py:79:38
	s_and_b64 s[52:53], s[26:27], vcc
	.loc	1 80 20                         ; triton_scaled_mm_aot.py:80:20
	s_and_saveexec_b64 s[44:45], s[52:53]
	s_cbranch_execz .LBB0_52
; %bb.51:
	.loc	1 89 18                         ; triton_scaled_mm_aot.py:89:18
	v_lshl_add_u64 v[2:3], v[26:27], 0, s[16:17]
	.loc	1 80 20                         ; triton_scaled_mm_aot.py:80:20
	global_load_ubyte v55, v[2:3], off
.LBB0_52:
	.loc	1 0 20 is_stmt 0                ; triton_scaled_mm_aot.py:0:20
	s_or_b64 exec, exec, s[44:45]
	.loc	1 90 33 is_stmt 1               ; triton_scaled_mm_aot.py:90:33
	s_lshl_b32 s44, s46, 5
	v_bfe_i32 v0, v0, 3, 1
	s_movk_i32 s46, 0x110
	v_lshrrev_b32_e32 v3, 1, v56
	v_and_b32_e32 v2, 0x2e0, v57
	v_bitop3_b32 v4, v0, v3, s46 bitop3:0x6c
	s_lshl3_add_u32 s46, s33, 0
	v_add_u32_e32 v5, s46, v2
	.loc	1 80 20                         ; triton_scaled_mm_aot.py:80:20
	v_add_u32_e32 v66, v5, v4
	s_waitcnt lgkmcnt(0)
	s_barrier
	ds_read_b128 v[46:49], v66
	.loc	1 88 21                         ; triton_scaled_mm_aot.py:88:21
	s_or_b32 s50, s55, 32
	.loc	1 78 30                         ; triton_scaled_mm_aot.py:78:30
	v_mov_b64_e32 v[2:3], s[42:43]
	v_cmp_lt_u64_e32 vcc, s[50:51], v[2:3]
	s_mov_b32 s49, 0
	s_ashr_i32 s45, s44, 31
	.loc	1 82 37                         ; triton_scaled_mm_aot.py:82:37
	s_and_b64 s[82:83], s[28:29], vcc
	v_mov_b32_e32 v26, 0
	v_mov_b32_e32 v27, 0
	.loc	1 83 20                         ; triton_scaled_mm_aot.py:83:20
	s_and_saveexec_b64 s[52:53], s[82:83]
	s_cbranch_execz .LBB0_54
; %bb.53:
	.loc	1 90 18                         ; triton_scaled_mm_aot.py:90:18
	v_lshl_add_u64 v[2:3], v[28:29], 0, s[44:45]
	.loc	1 83 20                         ; triton_scaled_mm_aot.py:83:20
	global_load_ubyte v27, v[2:3], off
.LBB0_54:
	.loc	1 0 20 is_stmt 0                ; triton_scaled_mm_aot.py:0:20
	s_or_b64 exec, exec, s[52:53]
	.loc	1 88 21 is_stmt 1               ; triton_scaled_mm_aot.py:88:21
	s_or_b32 s50, s48, 32
	.loc	1 78 30                         ; triton_scaled_mm_aot.py:78:30
	v_mov_b64_e32 v[2:3], s[42:43]
	v_cmp_lt_u64_e32 vcc, s[50:51], v[2:3]
	.loc	1 82 37                         ; triton_scaled_mm_aot.py:82:37
	s_and_b64 s[52:53], s[28:29], vcc
	.loc	1 83 20                         ; triton_scaled_mm_aot.py:83:20
	s_and_saveexec_b64 s[50:51], s[52:53]
	s_cbranch_execz .LBB0_56
; %bb.55:
	.loc	1 90 18                         ; triton_scaled_mm_aot.py:90:18
	v_lshl_add_u64 v[2:3], v[30:31], 0, s[44:45]
	.loc	1 83 20                         ; triton_scaled_mm_aot.py:83:20
	global_load_ubyte v26, v[2:3], off
.LBB0_56:
	.loc	1 0 20 is_stmt 0                ; triton_scaled_mm_aot.py:0:20
	s_or_b64 exec, exec, s[50:51]
	.loc	1 88 21 is_stmt 1               ; triton_scaled_mm_aot.py:88:21
	s_or_b32 s48, s76, 32
	.loc	1 78 30                         ; triton_scaled_mm_aot.py:78:30
	v_mov_b64_e32 v[2:3], s[42:43]
	v_cmp_lt_u64_e32 vcc, s[48:49], v[2:3]
	s_mov_b32 s51, 0
	.loc	1 82 37                         ; triton_scaled_mm_aot.py:82:37
	s_and_b64 s[82:83], s[28:29], vcc
	v_mov_b32_e32 v28, 0
	v_mov_b32_e32 v29, 0
	.loc	1 83 20                         ; triton_scaled_mm_aot.py:83:20
	s_and_saveexec_b64 s[52:53], s[82:83]
	s_cbranch_execz .LBB0_58
; %bb.57:
	.loc	1 90 18                         ; triton_scaled_mm_aot.py:90:18
	v_lshl_add_u64 v[2:3], v[32:33], 0, s[44:45]
	.loc	1 83 20                         ; triton_scaled_mm_aot.py:83:20
	global_load_ubyte v29, v[2:3], off
.LBB0_58:
	.loc	1 0 20 is_stmt 0                ; triton_scaled_mm_aot.py:0:20
	s_or_b64 exec, exec, s[52:53]
	.loc	1 88 21 is_stmt 1               ; triton_scaled_mm_aot.py:88:21
	s_or_b32 s48, s77, 32
	.loc	1 78 30                         ; triton_scaled_mm_aot.py:78:30
	v_mov_b64_e32 v[2:3], s[42:43]
	v_cmp_lt_u64_e32 vcc, s[48:49], v[2:3]
	.loc	1 82 37                         ; triton_scaled_mm_aot.py:82:37
	s_and_b64 s[52:53], s[28:29], vcc
	.loc	1 83 20                         ; triton_scaled_mm_aot.py:83:20
	s_and_saveexec_b64 s[48:49], s[52:53]
	s_cbranch_execz .LBB0_60
; %bb.59:
	.loc	1 90 18                         ; triton_scaled_mm_aot.py:90:18
	v_lshl_add_u64 v[2:3], v[34:35], 0, s[44:45]
	.loc	1 83 20                         ; triton_scaled_mm_aot.py:83:20
	global_load_ubyte v28, v[2:3], off
.LBB0_60:
	.loc	1 0 20 is_stmt 0                ; triton_scaled_mm_aot.py:0:20
	s_or_b64 exec, exec, s[48:49]
	.loc	1 88 21 is_stmt 1               ; triton_scaled_mm_aot.py:88:21
	s_or_b32 s50, s78, 32
	.loc	1 78 30                         ; triton_scaled_mm_aot.py:78:30
	v_mov_b64_e32 v[2:3], s[42:43]
	v_cmp_lt_u64_e32 vcc, s[50:51], v[2:3]
	s_mov_b32 s49, 0
	.loc	1 82 37                         ; triton_scaled_mm_aot.py:82:37
	s_and_b64 s[76:77], s[28:29], vcc
	v_mov_b32_e32 v30, 0
	v_mov_b32_e32 v31, 0
	.loc	1 83 20                         ; triton_scaled_mm_aot.py:83:20
	s_and_saveexec_b64 s[52:53], s[76:77]
	s_cbranch_execz .LBB0_62
; %bb.61:
	.loc	1 90 18                         ; triton_scaled_mm_aot.py:90:18
	v_lshl_add_u64 v[2:3], v[36:37], 0, s[44:45]
	.loc	1 83 20                         ; triton_scaled_mm_aot.py:83:20
	global_load_ubyte v31, v[2:3], off
.LBB0_62:
	.loc	1 0 20 is_stmt 0                ; triton_scaled_mm_aot.py:0:20
	s_or_b64 exec, exec, s[52:53]
	.loc	1 88 21 is_stmt 1               ; triton_scaled_mm_aot.py:88:21
	s_or_b32 s50, s79, 32
	.loc	1 78 30                         ; triton_scaled_mm_aot.py:78:30
	v_mov_b64_e32 v[2:3], s[42:43]
	v_cmp_lt_u64_e32 vcc, s[50:51], v[2:3]
	.loc	1 82 37                         ; triton_scaled_mm_aot.py:82:37
	s_and_b64 s[52:53], s[28:29], vcc
	.loc	1 83 20                         ; triton_scaled_mm_aot.py:83:20
	s_and_saveexec_b64 s[50:51], s[52:53]
	s_cbranch_execz .LBB0_64
; %bb.63:
	.loc	1 90 18                         ; triton_scaled_mm_aot.py:90:18
	v_lshl_add_u64 v[2:3], v[38:39], 0, s[44:45]
	.loc	1 83 20                         ; triton_scaled_mm_aot.py:83:20
	global_load_ubyte v30, v[2:3], off
.LBB0_64:
	.loc	1 0 20 is_stmt 0                ; triton_scaled_mm_aot.py:0:20
	s_or_b64 exec, exec, s[50:51]
	.loc	1 88 21 is_stmt 1               ; triton_scaled_mm_aot.py:88:21
	s_or_b32 s48, s80, 32
	.loc	1 78 30                         ; triton_scaled_mm_aot.py:78:30
	v_mov_b64_e32 v[2:3], s[42:43]
	v_cmp_lt_u64_e32 vcc, s[48:49], v[2:3]
	.loc	1 82 37                         ; triton_scaled_mm_aot.py:82:37
	s_and_b64 s[52:53], s[28:29], vcc
	v_mov_b32_e32 v32, 0
	v_mov_b32_e32 v33, 0
	.loc	1 83 20                         ; triton_scaled_mm_aot.py:83:20
	s_and_saveexec_b64 s[50:51], s[52:53]
	s_cbranch_execz .LBB0_66
; %bb.65:
	.loc	1 90 18                         ; triton_scaled_mm_aot.py:90:18
	v_lshl_add_u64 v[2:3], v[40:41], 0, s[44:45]
	.loc	1 83 20                         ; triton_scaled_mm_aot.py:83:20
	global_load_ubyte v33, v[2:3], off
.LBB0_66:
	.loc	1 0 20 is_stmt 0                ; triton_scaled_mm_aot.py:0:20
	s_or_b64 exec, exec, s[50:51]
	.loc	1 88 21 is_stmt 1               ; triton_scaled_mm_aot.py:88:21
	s_or_b32 s48, s81, 32
	.loc	1 78 30                         ; triton_scaled_mm_aot.py:78:30
	v_mov_b64_e32 v[2:3], s[42:43]
	v_cmp_lt_u64_e32 vcc, s[48:49], v[2:3]
	v_and_b32_e32 v0, 0x110, v0
	.loc	1 82 37                         ; triton_scaled_mm_aot.py:82:37
	s_and_b64 s[50:51], s[28:29], vcc
	.loc	1 83 20                         ; triton_scaled_mm_aot.py:83:20
	s_and_saveexec_b64 s[48:49], s[50:51]
	s_cbranch_execz .LBB0_68
; %bb.67:
	.loc	1 90 18                         ; triton_scaled_mm_aot.py:90:18
	v_lshl_add_u64 v[2:3], v[42:43], 0, s[44:45]
	.loc	1 83 20                         ; triton_scaled_mm_aot.py:83:20
	global_load_ubyte v32, v[2:3], off
.LBB0_68:
	.loc	1 0 20 is_stmt 0                ; triton_scaled_mm_aot.py:0:20
	s_or_b64 exec, exec, s[48:49]
	v_and_b32_e32 v64, 0x4c0, v57
	v_and_b32_e32 v65, 8, v1
	v_bitop3_b32 v0, v0, v59, v64 bitop3:0x36
	v_or_b32_e32 v0, v0, v65
	v_or_b32_e32 v1, s54, v0
	.loc	1 83 20                         ; triton_scaled_mm_aot.py:83:20
	v_add_u32_e32 v67, 0, v1
	v_bitop3_b32 v0, v0, 32, s54 bitop3:0x36
	v_add_u32_e32 v68, 0, v0
	ds_read_b64_tr_b8 v[34:35], v67 offset:2048
	ds_read_b64_tr_b8 v[36:37], v68 offset:2560
.Ltmp5:
	.loc	2 43 30 is_stmt 1               ; standard.py:43:30 @[ triton_scaled_mm_aot.py:77:33 ]
	s_ashr_i32 s46, s59, 31
.Ltmp6:
	.loc	1 86 35                         ; triton_scaled_mm_aot.py:86:35
	s_waitcnt lgkmcnt(0)
	v_mfma_i32_32x32x32_i8 v[0:15], v[34:37], v[46:49], 0
.Ltmp7:
	.loc	2 43 30                         ; standard.py:43:30 @[ triton_scaled_mm_aot.py:77:33 ]
	s_lshr_b32 s46, s46, 27
	s_add_i32 s59, s59, s46
	s_ashr_i32 s46, s59, 5
.Ltmp8:
	.loc	1 77 22                         ; triton_scaled_mm_aot.py:77:22
	s_max_i32 s46, s46, 2
	.loc	1 86 35                         ; triton_scaled_mm_aot.py:86:35
	v_mov_b32_e32 v45, 0
	.loc	1 77 22                         ; triton_scaled_mm_aot.py:77:22
	s_cmp_eq_u32 s46, 2
	.loc	1 80 20                         ; triton_scaled_mm_aot.py:80:20
	s_waitcnt lgkmcnt(0)
	s_barrier
	s_waitcnt vmcnt(0)
	ds_write_b8 v60, v50
	ds_write_b8 v60, v52 offset:512
	ds_write_b8 v60, v54 offset:1024
	;; [unrolled: 1-line block ×7, first 2 shown]
	.loc	1 83 20                         ; triton_scaled_mm_aot.py:83:20
	ds_write_b8 v60, v27 offset:2048
	ds_write_b8 v60, v31 offset:3072
	ds_write_b8 v61, v26 offset:2304
	ds_write_b8 v61, v30 offset:3328
	ds_write_b8 v62, v29 offset:2560
	ds_write_b8 v62, v33 offset:3584
	ds_write_b8 v63, v28 offset:2816
	ds_write_b8 v63, v32 offset:3840
	.loc	1 77 22                         ; triton_scaled_mm_aot.py:77:22
	s_cbranch_scc1 .LBB0_104
; %bb.69:                               ; %.peel.next
	.loc	1 0 22 is_stmt 0                ; triton_scaled_mm_aot.py:0:22
	s_ashr_i32 s52, s47, 31
	.loc	1 77 22                         ; triton_scaled_mm_aot.py:77:22
	s_lshl_b64 s[48:49], s[44:45], 1
	s_add_u32 s50, s4, s75
	s_addc_u32 s51, s5, s74
	v_lshl_add_u64 v[42:43], v[16:17], 0, v[24:25]
	v_mov_b64_e32 v[28:29], s[50:51]
	v_mad_u64_u32 v[28:29], s[50:51], v42, s47, v[28:29]
	s_add_u32 s50, s4, s73
	s_addc_u32 s51, s5, s72
	v_mov_b64_e32 v[30:31], s[50:51]
	v_mad_u64_u32 v[30:31], s[50:51], v42, s47, v[30:31]
	s_add_u32 s50, s4, s71
	s_addc_u32 s51, s5, s70
	;; [unrolled: 4-line block ×6, first 2 shown]
	s_add_u32 s4, s4, s61
	s_addc_u32 s5, s5, s60
	v_mov_b64_e32 v[40:41], s[50:51]
	v_mov_b64_e32 v[46:47], s[4:5]
	v_mov_b32_e32 v27, v21
	v_mul_lo_u32 v21, v42, s52
	v_mul_lo_u32 v25, v43, s47
	v_mad_u64_u32 v[40:41], s[50:51], v42, s47, v[40:41]
	v_mad_u64_u32 v[42:43], s[4:5], v42, s47, v[46:47]
	v_add3_u32 v29, v25, v29, v21
	v_add3_u32 v31, v25, v31, v21
	;; [unrolled: 1-line block ×8, first 2 shown]
	v_add_u32_e32 v21, s58, v24
	v_lshrrev_b32_e32 v44, 5, v21
	v_lshl_add_u64 v[70:71], v[44:45], 0, v[18:19]
	v_lshl_add_u64 v[24:25], v[70:71], 0, 56
	v_mul_lo_u32 v21, v24, s57
	v_mul_lo_u32 v44, v25, s56
	v_mad_u64_u32 v[24:25], s[50:51], v24, s56, v[22:23]
	v_add3_u32 v25, v44, v25, v21
	v_lshl_add_u64 v[44:45], v[70:71], 0, 48
	v_mul_lo_u32 v21, v44, s57
	v_mul_lo_u32 v46, v45, s56
	v_mad_u64_u32 v[44:45], s[50:51], v44, s56, v[22:23]
	v_add3_u32 v45, v46, v45, v21
	;; [unrolled: 5-line block ×7, first 2 shown]
	v_mul_lo_u32 v21, v70, s57
	v_mul_lo_u32 v69, v71, s56
	v_mad_u64_u32 v[22:23], s[50:51], v70, s56, v[22:23]
	v_add3_u32 v23, v69, v23, v21
	v_lshl_add_u64 v[24:25], s[2:3], 0, v[24:25]
	v_lshl_add_u64 v[44:45], s[2:3], 0, v[44:45]
	;; [unrolled: 1-line block ×8, first 2 shown]
	s_lshl_b32 s2, s46, 5
	v_or_b32_e32 v26, 64, v20
	s_lshl_b64 s[4:5], s[16:17], 1
	s_add_u32 s50, s2, 0xffffffc0
	s_mov_b64 s[2:3], 0
	s_branch .LBB0_71
.LBB0_70:                               ;   in Loop: Header=BB0_71 Depth=1
	.loc	1 0 22                          ; triton_scaled_mm_aot.py:0:22
	s_or_b64 exec, exec, s[46:47]
	.loc	1 83 20 is_stmt 1               ; triton_scaled_mm_aot.py:83:20
	ds_read_b64_tr_b8 v[88:89], v67 offset:2048
	ds_read_b64_tr_b8 v[90:91], v68 offset:2560
	.loc	1 77 22                         ; triton_scaled_mm_aot.py:77:22
	s_add_u32 s2, s2, 32
	s_addc_u32 s3, 0, s3
	v_lshl_add_u64 v[28:29], v[28:29], 0, s[44:45]
	v_lshl_add_u64 v[30:31], v[30:31], 0, s[44:45]
	.loc	1 86 35                         ; triton_scaled_mm_aot.py:86:35
	s_waitcnt lgkmcnt(0)
	v_mfma_i32_32x32x32_i8 v[0:15], v[88:91], v[70:73], v[0:15]
	.loc	1 77 22                         ; triton_scaled_mm_aot.py:77:22
	v_lshl_add_u64 v[32:33], v[32:33], 0, s[44:45]
	v_lshl_add_u64 v[34:35], v[34:35], 0, s[44:45]
	;; [unrolled: 1-line block ×13, first 2 shown]
	s_cmp_lg_u32 s50, s2
	v_lshl_add_u64 v[22:23], v[22:23], 0, s[16:17]
	.loc	1 80 20                         ; triton_scaled_mm_aot.py:80:20
	s_waitcnt lgkmcnt(0)
	s_barrier
	s_waitcnt vmcnt(0)
	ds_write_b8 v60, v69
	ds_write_b8 v60, v75 offset:512
	ds_write_b8 v60, v77 offset:1024
	;; [unrolled: 1-line block ×7, first 2 shown]
	.loc	1 83 20                         ; triton_scaled_mm_aot.py:83:20
	ds_write_b8 v60, v81 offset:2048
	ds_write_b8 v60, v85 offset:3072
	ds_write_b8 v61, v80 offset:2304
	ds_write_b8 v61, v84 offset:3328
	ds_write_b8 v62, v83 offset:2560
	ds_write_b8 v62, v87 offset:3584
	ds_write_b8 v63, v82 offset:2816
	ds_write_b8 v63, v86 offset:3840
	.loc	1 77 22                         ; triton_scaled_mm_aot.py:77:22
	s_cbranch_scc0 .LBB0_104
.LBB0_71:                               ; =>This Inner Loop Header: Depth=1
	.loc	1 88 21                         ; triton_scaled_mm_aot.py:88:21
	v_lshl_add_u64 v[70:71], v[26:27], 0, s[2:3]
	.loc	1 78 30                         ; triton_scaled_mm_aot.py:78:30
	v_cmp_gt_i64_e32 vcc, s[42:43], v[70:71]
	.loc	1 79 38                         ; triton_scaled_mm_aot.py:79:38
	s_and_b64 s[52:53], s[30:31], vcc
	v_mov_b32_e32 v21, 0
	v_mov_b32_e32 v69, 0
	.loc	1 80 20                         ; triton_scaled_mm_aot.py:80:20
	s_and_saveexec_b64 s[46:47], s[52:53]
	s_cbranch_execz .LBB0_73
; %bb.72:                               ;   in Loop: Header=BB0_71 Depth=1
	.loc	1 89 18                         ; triton_scaled_mm_aot.py:89:18
	v_lshl_add_u64 v[70:71], v[22:23], 0, s[4:5]
	.loc	1 80 20                         ; triton_scaled_mm_aot.py:80:20
	global_load_ubyte v69, v[70:71], off
.LBB0_73:                               ;   in Loop: Header=BB0_71 Depth=1
	.loc	1 0 20 is_stmt 0                ; triton_scaled_mm_aot.py:0:20
	s_or_b64 exec, exec, s[46:47]
	.loc	1 79 38 is_stmt 1               ; triton_scaled_mm_aot.py:79:38
	s_and_b64 s[52:53], s[34:35], vcc
	.loc	1 80 20                         ; triton_scaled_mm_aot.py:80:20
	s_and_saveexec_b64 s[46:47], s[52:53]
	s_cbranch_execz .LBB0_75
; %bb.74:                               ;   in Loop: Header=BB0_71 Depth=1
	.loc	1 89 18                         ; triton_scaled_mm_aot.py:89:18
	v_lshl_add_u64 v[70:71], v[54:55], 0, s[4:5]
	.loc	1 80 20                         ; triton_scaled_mm_aot.py:80:20
	global_load_ubyte v21, v[70:71], off
.LBB0_75:                               ;   in Loop: Header=BB0_71 Depth=1
	.loc	1 0 20 is_stmt 0                ; triton_scaled_mm_aot.py:0:20
	s_or_b64 exec, exec, s[46:47]
	.loc	1 79 38 is_stmt 1               ; triton_scaled_mm_aot.py:79:38
	s_and_b64 s[52:53], s[36:37], vcc
	v_mov_b32_e32 v74, 0
	v_mov_b32_e32 v75, 0
	.loc	1 80 20                         ; triton_scaled_mm_aot.py:80:20
	s_and_saveexec_b64 s[46:47], s[52:53]
	s_cbranch_execz .LBB0_77
; %bb.76:                               ;   in Loop: Header=BB0_71 Depth=1
	.loc	1 89 18                         ; triton_scaled_mm_aot.py:89:18
	v_lshl_add_u64 v[70:71], v[52:53], 0, s[4:5]
	.loc	1 80 20                         ; triton_scaled_mm_aot.py:80:20
	global_load_ubyte v75, v[70:71], off
.LBB0_77:                               ;   in Loop: Header=BB0_71 Depth=1
	.loc	1 0 20 is_stmt 0                ; triton_scaled_mm_aot.py:0:20
	s_or_b64 exec, exec, s[46:47]
	.loc	1 79 38 is_stmt 1               ; triton_scaled_mm_aot.py:79:38
	s_and_b64 s[52:53], s[18:19], vcc
	.loc	1 80 20                         ; triton_scaled_mm_aot.py:80:20
	s_and_saveexec_b64 s[46:47], s[52:53]
	s_cbranch_execz .LBB0_79
; %bb.78:                               ;   in Loop: Header=BB0_71 Depth=1
	.loc	1 89 18                         ; triton_scaled_mm_aot.py:89:18
	v_lshl_add_u64 v[70:71], v[50:51], 0, s[4:5]
	.loc	1 80 20                         ; triton_scaled_mm_aot.py:80:20
	global_load_ubyte v74, v[70:71], off
.LBB0_79:                               ;   in Loop: Header=BB0_71 Depth=1
	.loc	1 0 20 is_stmt 0                ; triton_scaled_mm_aot.py:0:20
	s_or_b64 exec, exec, s[46:47]
	.loc	1 79 38 is_stmt 1               ; triton_scaled_mm_aot.py:79:38
	;; [unrolled: 28-line block ×4, first 2 shown]
	s_add_u32 s51, s55, s2
	s_addc_u32 s52, 0, s3
	.loc	1 80 20                         ; triton_scaled_mm_aot.py:80:20
	s_waitcnt lgkmcnt(0)
	s_barrier
	ds_read_b128 v[70:73], v66
	.loc	1 88 21                         ; triton_scaled_mm_aot.py:88:21
	s_add_u32 s46, s51, 64
	s_addc_u32 s47, s52, 0
	.loc	1 78 30                         ; triton_scaled_mm_aot.py:78:30
	v_mov_b64_e32 v[80:81], s[42:43]
	v_cmp_lt_i64_e32 vcc, s[46:47], v[80:81]
	.loc	1 82 37                         ; triton_scaled_mm_aot.py:82:37
	s_and_b64 s[56:57], s[28:29], vcc
	v_mov_b32_e32 v80, 0
	v_mov_b32_e32 v81, 0
	.loc	1 83 20                         ; triton_scaled_mm_aot.py:83:20
	s_and_saveexec_b64 s[46:47], s[56:57]
	s_cbranch_execz .LBB0_89
; %bb.88:                               ;   in Loop: Header=BB0_71 Depth=1
	.loc	1 90 18                         ; triton_scaled_mm_aot.py:90:18
	v_lshl_add_u64 v[82:83], v[42:43], 0, s[48:49]
	.loc	1 83 20                         ; triton_scaled_mm_aot.py:83:20
	global_load_ubyte v81, v[82:83], off
.LBB0_89:                               ;   in Loop: Header=BB0_71 Depth=1
	.loc	1 0 20 is_stmt 0                ; triton_scaled_mm_aot.py:0:20
	s_or_b64 exec, exec, s[46:47]
	.loc	1 88 21 is_stmt 1               ; triton_scaled_mm_aot.py:88:21
	s_add_u32 s46, s51, 0x44
	s_addc_u32 s47, s52, 0
	.loc	1 78 30                         ; triton_scaled_mm_aot.py:78:30
	v_mov_b64_e32 v[82:83], s[42:43]
	v_cmp_lt_i64_e32 vcc, s[46:47], v[82:83]
	.loc	1 82 37                         ; triton_scaled_mm_aot.py:82:37
	s_and_b64 s[56:57], s[28:29], vcc
	.loc	1 83 20                         ; triton_scaled_mm_aot.py:83:20
	s_and_saveexec_b64 s[46:47], s[56:57]
	s_cbranch_execz .LBB0_91
; %bb.90:                               ;   in Loop: Header=BB0_71 Depth=1
	.loc	1 90 18                         ; triton_scaled_mm_aot.py:90:18
	v_lshl_add_u64 v[82:83], v[40:41], 0, s[48:49]
	.loc	1 83 20                         ; triton_scaled_mm_aot.py:83:20
	global_load_ubyte v80, v[82:83], off
.LBB0_91:                               ;   in Loop: Header=BB0_71 Depth=1
	.loc	1 0 20 is_stmt 0                ; triton_scaled_mm_aot.py:0:20
	s_or_b64 exec, exec, s[46:47]
	.loc	1 88 21 is_stmt 1               ; triton_scaled_mm_aot.py:88:21
	s_add_u32 s46, s51, 0x48
	s_addc_u32 s47, s52, 0
	.loc	1 78 30                         ; triton_scaled_mm_aot.py:78:30
	v_mov_b64_e32 v[82:83], s[42:43]
	v_cmp_lt_i64_e32 vcc, s[46:47], v[82:83]
	.loc	1 82 37                         ; triton_scaled_mm_aot.py:82:37
	s_and_b64 s[56:57], s[28:29], vcc
	v_mov_b32_e32 v82, 0
	v_mov_b32_e32 v83, 0
	.loc	1 83 20                         ; triton_scaled_mm_aot.py:83:20
	s_and_saveexec_b64 s[46:47], s[56:57]
	s_cbranch_execz .LBB0_93
; %bb.92:                               ;   in Loop: Header=BB0_71 Depth=1
	.loc	1 90 18                         ; triton_scaled_mm_aot.py:90:18
	v_lshl_add_u64 v[84:85], v[38:39], 0, s[48:49]
	.loc	1 83 20                         ; triton_scaled_mm_aot.py:83:20
	global_load_ubyte v83, v[84:85], off
.LBB0_93:                               ;   in Loop: Header=BB0_71 Depth=1
	.loc	1 0 20 is_stmt 0                ; triton_scaled_mm_aot.py:0:20
	s_or_b64 exec, exec, s[46:47]
	.loc	1 88 21 is_stmt 1               ; triton_scaled_mm_aot.py:88:21
	s_add_u32 s46, s51, 0x4c
	s_addc_u32 s47, s52, 0
	.loc	1 78 30                         ; triton_scaled_mm_aot.py:78:30
	v_mov_b64_e32 v[84:85], s[42:43]
	v_cmp_lt_i64_e32 vcc, s[46:47], v[84:85]
	.loc	1 82 37                         ; triton_scaled_mm_aot.py:82:37
	s_and_b64 s[56:57], s[28:29], vcc
	.loc	1 83 20                         ; triton_scaled_mm_aot.py:83:20
	s_and_saveexec_b64 s[46:47], s[56:57]
	s_cbranch_execz .LBB0_95
; %bb.94:                               ;   in Loop: Header=BB0_71 Depth=1
	.loc	1 90 18                         ; triton_scaled_mm_aot.py:90:18
	v_lshl_add_u64 v[84:85], v[36:37], 0, s[48:49]
	.loc	1 83 20                         ; triton_scaled_mm_aot.py:83:20
	global_load_ubyte v82, v[84:85], off
.LBB0_95:                               ;   in Loop: Header=BB0_71 Depth=1
	.loc	1 0 20 is_stmt 0                ; triton_scaled_mm_aot.py:0:20
	s_or_b64 exec, exec, s[46:47]
	.loc	1 88 21 is_stmt 1               ; triton_scaled_mm_aot.py:88:21
	;; [unrolled: 40-line block ×3, first 2 shown]
	s_add_u32 s46, s51, 0x58
	s_addc_u32 s47, s52, 0
	.loc	1 78 30                         ; triton_scaled_mm_aot.py:78:30
	v_mov_b64_e32 v[86:87], s[42:43]
	v_cmp_lt_i64_e32 vcc, s[46:47], v[86:87]
	.loc	1 82 37                         ; triton_scaled_mm_aot.py:82:37
	s_and_b64 s[56:57], s[28:29], vcc
	v_mov_b32_e32 v86, 0
	v_mov_b32_e32 v87, 0
	.loc	1 83 20                         ; triton_scaled_mm_aot.py:83:20
	s_and_saveexec_b64 s[46:47], s[56:57]
	s_cbranch_execz .LBB0_101
; %bb.100:                              ;   in Loop: Header=BB0_71 Depth=1
	.loc	1 90 18                         ; triton_scaled_mm_aot.py:90:18
	v_lshl_add_u64 v[88:89], v[30:31], 0, s[48:49]
	.loc	1 83 20                         ; triton_scaled_mm_aot.py:83:20
	global_load_ubyte v87, v[88:89], off
.LBB0_101:                              ;   in Loop: Header=BB0_71 Depth=1
	.loc	1 0 20 is_stmt 0                ; triton_scaled_mm_aot.py:0:20
	s_or_b64 exec, exec, s[46:47]
	.loc	1 89 18 is_stmt 1               ; triton_scaled_mm_aot.py:89:18
	s_add_u32 s46, s51, 0x5c
	s_addc_u32 s47, s52, 0
	.loc	1 78 30                         ; triton_scaled_mm_aot.py:78:30
	v_mov_b64_e32 v[88:89], s[42:43]
	v_cmp_lt_i64_e32 vcc, s[46:47], v[88:89]
	.loc	1 82 37                         ; triton_scaled_mm_aot.py:82:37
	s_and_b64 s[52:53], s[28:29], vcc
	.loc	1 83 20                         ; triton_scaled_mm_aot.py:83:20
	s_and_saveexec_b64 s[46:47], s[52:53]
	s_cbranch_execz .LBB0_70
; %bb.102:                              ;   in Loop: Header=BB0_71 Depth=1
	.loc	1 78 30                         ; triton_scaled_mm_aot.py:78:30
	v_lshl_add_u64 v[88:89], v[28:29], 0, s[48:49]
	.loc	1 83 20                         ; triton_scaled_mm_aot.py:83:20
	global_load_ubyte v86, v[88:89], off
	s_branch .LBB0_70
.LBB0_103:
	.loc	1 0 20 is_stmt 0                ; triton_scaled_mm_aot.py:0:20
	v_mov_b32_e32 v15, 0
	v_mov_b32_e32 v14, v15
	;; [unrolled: 1-line block ×16, first 2 shown]
.LBB0_104:                              ; %Flow355
	.loc	1 80 20 is_stmt 1               ; triton_scaled_mm_aot.py:80:20
	v_mov_b32_e32 v21, 0x110
	v_cmp_eq_u32_e32 vcc, 0, v58
	s_load_dwordx2 s[2:3], s[0:1], 0x4c
	s_waitcnt lgkmcnt(0)
	v_cndmask_b32_e64 v21, v21, 0, vcc
	.loc	1 83 20                         ; triton_scaled_mm_aot.py:83:20
	v_bitop3_b32 v22, v21, v59, v64 bitop3:0x36
	v_or3_b32 v22, v22, v65, s54
	v_add_u32_e32 v23, 0, v22
	v_xad_u32 v24, v22, 32, 0
	.loc	1 80 20                         ; triton_scaled_mm_aot.py:80:20
	s_barrier
	.loc	1 83 20                         ; triton_scaled_mm_aot.py:83:20
	ds_read_b64_tr_b8 v[22:23], v23 offset:2048
	ds_read_b64_tr_b8 v[24:25], v24 offset:2560
	.loc	1 86 35                         ; triton_scaled_mm_aot.py:86:35
	s_andn2_b64 vcc, exec, s[40:41]
	s_cbranch_vccnz .LBB0_106
; %bb.105:
	.loc	1 80 20                         ; triton_scaled_mm_aot.py:80:20
	v_lshrrev_b32_e32 v27, 1, v56
	v_and_b32_e32 v26, 0x2e0, v57
	s_lshl3_add_u32 s0, s33, 0
	v_xor_b32_e32 v21, v21, v27
	v_add3_u32 v21, s0, v26, v21
	ds_read_b128 v[26:29], v21
	.loc	1 86 35                         ; triton_scaled_mm_aot.py:86:35
	s_waitcnt lgkmcnt(0)
	v_mfma_i32_32x32x32_i8 v[0:15], v[22:25], v[26:29], v[0:15]
.LBB0_106:                              ; %._crit_edge._crit_edge
	.loc	1 63 40                         ; triton_scaled_mm_aot.py:63:40
	s_cmp_lt_i32 s14, 1
	.loc	1 99 43                         ; triton_scaled_mm_aot.py:99:43
	s_waitcnt lgkmcnt(1)
	v_mov_b32_e32 v22, 0
	s_cbranch_scc1 .LBB0_176
; %bb.107:
	.loc	1 94 45                         ; triton_scaled_mm_aot.py:94:45
	v_mov_b32_e32 v21, 0
	s_waitcnt lgkmcnt(0)
	global_load_dword v24, v21, s[6:7]
	s_waitcnt vmcnt(0)
	v_mov_b32_e32 v25, v24
	.loc	1 69 40                         ; triton_scaled_mm_aot.py:69:40
	s_cmp_lt_i32 s38, 1
	.loc	1 102 45                        ; triton_scaled_mm_aot.py:102:45
	s_cbranch_scc1 .LBB0_109
.LBB0_108:
	v_mov_b32_e32 v21, 0
	global_load_dword v22, v21, s[8:9]
.LBB0_109:
	.loc	1 99 43                         ; triton_scaled_mm_aot.py:99:43
	v_cvt_f32_i32_e32 v1, v1
	v_cvt_f32_i32_e32 v0, v0
	;; [unrolled: 1-line block ×16, first 2 shown]
	.loc	1 99 28 is_stmt 0               ; triton_scaled_mm_aot.py:99:28
	v_pk_mul_f32 v[0:1], v[24:25], v[0:1]
	v_pk_mul_f32 v[2:3], v[24:25], v[2:3]
	;; [unrolled: 1-line block ×8, first 2 shown]
	.loc	1 104 30 is_stmt 1              ; triton_scaled_mm_aot.py:104:30
	s_waitcnt vmcnt(0)
	v_mov_b32_e32 v23, v22
	v_pk_mul_f32 v[0:1], v[0:1], v[22:23]
	v_pk_mul_f32 v[2:3], v[2:3], v[22:23]
	;; [unrolled: 1-line block ×8, first 2 shown]
	.loc	1 107 23                        ; triton_scaled_mm_aot.py:107:23
	v_cvt_pk_f16_f32 v11, v0, v1
	v_cvt_pk_f16_f32 v10, v2, v3
	v_cvt_pk_f16_f32 v9, v4, v5
	v_cvt_pk_f16_f32 v8, v6, v7
	v_cvt_pk_f16_f32 v7, v24, v25
	v_cvt_pk_f16_f32 v6, v26, v27
	v_cvt_pk_f16_f32 v5, v12, v13
	.loc	1 110 7                         ; triton_scaled_mm_aot.py:110:7
	s_cmp_eq_u64 s[12:13], 0
	.loc	1 107 23                        ; triton_scaled_mm_aot.py:107:23
	v_cvt_pk_f16_f32 v4, v14, v15
	.loc	1 110 7                         ; triton_scaled_mm_aot.py:110:7
	s_cbranch_scc1 .LBB0_143
; %bb.110:
	.loc	1 46 53                         ; triton_scaled_mm_aot.py:46:53
	v_lshrrev_b32_e32 v0, 3, v56
	v_or_b32_e32 v0, s54, v0
	.loc	1 49 40                         ; triton_scaled_mm_aot.py:49:40
	v_or_b32_e32 v2, v16, v0
	v_mov_b32_e32 v3, v17
	.loc	1 114 34                        ; triton_scaled_mm_aot.py:114:34
	v_mov_b32_e32 v12, 0
	.loc	1 46 70                         ; triton_scaled_mm_aot.py:46:70
	v_mov_b32_e32 v1, 0
	.loc	1 50 28                         ; triton_scaled_mm_aot.py:50:28
	v_cmp_gt_i64_e32 vcc, s[38:39], v[2:3]
	v_mov_b32_e32 v13, v12
	.loc	1 114 34                        ; triton_scaled_mm_aot.py:114:34
	s_and_saveexec_b64 s[0:1], vcc
	s_cbranch_execz .LBB0_112
; %bb.111:
	.loc	1 0 34 is_stmt 0                ; triton_scaled_mm_aot.py:0:34
	v_lshl_add_u64 v[2:3], v[2:3], 1, s[12:13]
	.loc	1 114 34                        ; triton_scaled_mm_aot.py:114:34
	global_load_ushort v13, v[2:3], off
.LBB0_112:
	.loc	1 0 34                          ; triton_scaled_mm_aot.py:0:34
	s_or_b64 exec, exec, s[0:1]
	v_lshl_add_u64 v[2:3], v[0:1], 0, v[16:17]
	.loc	1 49 40 is_stmt 1               ; triton_scaled_mm_aot.py:49:40
	v_or3_b32 v14, v0, v16, 1
	v_mov_b32_e32 v15, v17
	.loc	1 112 31                        ; triton_scaled_mm_aot.py:112:31
	v_lshl_add_u64 v[2:3], v[2:3], 1, s[12:13]
	.loc	1 50 28                         ; triton_scaled_mm_aot.py:50:28
	v_cmp_gt_i64_e32 vcc, s[38:39], v[14:15]
	.loc	1 114 34                        ; triton_scaled_mm_aot.py:114:34
	s_and_saveexec_b64 s[0:1], vcc
	s_cbranch_execz .LBB0_114
; %bb.113:
	global_load_ushort v12, v[2:3], off offset:2
.LBB0_114:
	.loc	1 0 34 is_stmt 0                ; triton_scaled_mm_aot.py:0:34
	s_or_b64 exec, exec, s[0:1]
	.loc	1 49 40 is_stmt 1               ; triton_scaled_mm_aot.py:49:40
	v_or3_b32 v14, v0, v16, 2
	v_mov_b32_e32 v15, v17
	.loc	1 114 34                        ; triton_scaled_mm_aot.py:114:34
	v_mov_b32_e32 v1, 0
	.loc	1 50 28                         ; triton_scaled_mm_aot.py:50:28
	v_cmp_gt_i64_e32 vcc, s[38:39], v[14:15]
	v_mov_b32_e32 v14, v1
	.loc	1 114 34                        ; triton_scaled_mm_aot.py:114:34
	s_and_saveexec_b64 s[0:1], vcc
	s_cbranch_execz .LBB0_116
; %bb.115:
	global_load_ushort v14, v[2:3], off offset:4
.LBB0_116:
	.loc	1 0 34 is_stmt 0                ; triton_scaled_mm_aot.py:0:34
	s_or_b64 exec, exec, s[0:1]
	.loc	1 49 40 is_stmt 1               ; triton_scaled_mm_aot.py:49:40
	v_or3_b32 v22, v0, v16, 3
	v_mov_b32_e32 v23, v17
	.loc	1 50 28                         ; triton_scaled_mm_aot.py:50:28
	v_cmp_gt_i64_e32 vcc, s[38:39], v[22:23]
	.loc	1 114 34                        ; triton_scaled_mm_aot.py:114:34
	s_and_saveexec_b64 s[0:1], vcc
	s_cbranch_execz .LBB0_118
; %bb.117:
	global_load_ushort v1, v[2:3], off offset:6
.LBB0_118:
	.loc	1 0 34 is_stmt 0                ; triton_scaled_mm_aot.py:0:34
	s_or_b64 exec, exec, s[0:1]
	.loc	1 49 40 is_stmt 1               ; triton_scaled_mm_aot.py:49:40
	v_or3_b32 v22, v0, v16, 8
	v_mov_b32_e32 v23, v17
	.loc	1 114 34                        ; triton_scaled_mm_aot.py:114:34
	v_mov_b32_e32 v15, 0
	.loc	1 50 28                         ; triton_scaled_mm_aot.py:50:28
	v_cmp_gt_i64_e32 vcc, s[38:39], v[22:23]
	v_mov_b32_e32 v21, v15
	.loc	1 114 34                        ; triton_scaled_mm_aot.py:114:34
	s_and_saveexec_b64 s[0:1], vcc
	s_cbranch_execz .LBB0_120
; %bb.119:
	global_load_ushort v21, v[2:3], off offset:16
.LBB0_120:
	.loc	1 0 34 is_stmt 0                ; triton_scaled_mm_aot.py:0:34
	s_or_b64 exec, exec, s[0:1]
	.loc	1 49 40 is_stmt 1               ; triton_scaled_mm_aot.py:49:40
	v_or3_b32 v22, v0, v16, 9
	v_mov_b32_e32 v23, v17
	.loc	1 50 28                         ; triton_scaled_mm_aot.py:50:28
	v_cmp_gt_i64_e32 vcc, s[38:39], v[22:23]
	.loc	1 114 34                        ; triton_scaled_mm_aot.py:114:34
	s_and_saveexec_b64 s[0:1], vcc
	s_cbranch_execz .LBB0_122
; %bb.121:
	global_load_ushort v15, v[2:3], off offset:18
.LBB0_122:
	.loc	1 0 34 is_stmt 0                ; triton_scaled_mm_aot.py:0:34
	s_or_b64 exec, exec, s[0:1]
	.loc	1 49 40 is_stmt 1               ; triton_scaled_mm_aot.py:49:40
	v_or3_b32 v22, v0, v16, 10
	v_mov_b32_e32 v23, v17
	.loc	1 50 28                         ; triton_scaled_mm_aot.py:50:28
	v_cmp_gt_i64_e32 vcc, s[38:39], v[22:23]
	.loc	1 114 34                        ; triton_scaled_mm_aot.py:114:34
	v_mov_b32_e32 v22, 0
	v_mov_b32_e32 v23, v22
	s_and_saveexec_b64 s[0:1], vcc
	s_cbranch_execz .LBB0_124
; %bb.123:
	global_load_ushort v23, v[2:3], off offset:20
.LBB0_124:
	.loc	1 0 34 is_stmt 0                ; triton_scaled_mm_aot.py:0:34
	s_or_b64 exec, exec, s[0:1]
	.loc	1 49 40 is_stmt 1               ; triton_scaled_mm_aot.py:49:40
	v_or3_b32 v24, v0, v16, 11
	v_mov_b32_e32 v25, v17
	.loc	1 50 28                         ; triton_scaled_mm_aot.py:50:28
	v_cmp_gt_i64_e32 vcc, s[38:39], v[24:25]
	.loc	1 114 34                        ; triton_scaled_mm_aot.py:114:34
	s_and_saveexec_b64 s[0:1], vcc
	s_cbranch_execz .LBB0_126
; %bb.125:
	global_load_ushort v22, v[2:3], off offset:22
.LBB0_126:
	.loc	1 0 34 is_stmt 0                ; triton_scaled_mm_aot.py:0:34
	s_or_b64 exec, exec, s[0:1]
	.loc	1 49 40 is_stmt 1               ; triton_scaled_mm_aot.py:49:40
	v_or3_b32 v24, v0, v16, 16
	v_mov_b32_e32 v25, v17
	.loc	1 50 28                         ; triton_scaled_mm_aot.py:50:28
	v_cmp_gt_i64_e32 vcc, s[38:39], v[24:25]
	.loc	1 114 34                        ; triton_scaled_mm_aot.py:114:34
	v_mov_b32_e32 v24, 0
	v_mov_b32_e32 v25, v24
	s_and_saveexec_b64 s[0:1], vcc
	s_cbranch_execz .LBB0_128
; %bb.127:
	global_load_ushort v25, v[2:3], off offset:32
.LBB0_128:
	.loc	1 0 34 is_stmt 0                ; triton_scaled_mm_aot.py:0:34
	s_or_b64 exec, exec, s[0:1]
	.loc	1 49 40 is_stmt 1               ; triton_scaled_mm_aot.py:49:40
	v_or3_b32 v26, v0, v16, 17
	v_mov_b32_e32 v27, v17
	.loc	1 50 28                         ; triton_scaled_mm_aot.py:50:28
	v_cmp_gt_i64_e32 vcc, s[38:39], v[26:27]
	.loc	1 114 34                        ; triton_scaled_mm_aot.py:114:34
	s_and_saveexec_b64 s[0:1], vcc
	s_cbranch_execz .LBB0_130
; %bb.129:
	global_load_ushort v24, v[2:3], off offset:34
.LBB0_130:
	.loc	1 0 34 is_stmt 0                ; triton_scaled_mm_aot.py:0:34
	s_or_b64 exec, exec, s[0:1]
	.loc	1 49 40 is_stmt 1               ; triton_scaled_mm_aot.py:49:40
	v_or3_b32 v26, v0, v16, 18
	v_mov_b32_e32 v27, v17
	.loc	1 50 28                         ; triton_scaled_mm_aot.py:50:28
	v_cmp_gt_i64_e32 vcc, s[38:39], v[26:27]
	.loc	1 114 34                        ; triton_scaled_mm_aot.py:114:34
	v_mov_b32_e32 v26, 0
	v_mov_b32_e32 v27, v26
	s_and_saveexec_b64 s[0:1], vcc
	s_cbranch_execz .LBB0_132
; %bb.131:
	global_load_ushort v27, v[2:3], off offset:36
.LBB0_132:
	.loc	1 0 34 is_stmt 0                ; triton_scaled_mm_aot.py:0:34
	s_or_b64 exec, exec, s[0:1]
	.loc	1 49 40 is_stmt 1               ; triton_scaled_mm_aot.py:49:40
	v_or3_b32 v28, v0, v16, 19
	v_mov_b32_e32 v29, v17
	.loc	1 50 28                         ; triton_scaled_mm_aot.py:50:28
	v_cmp_gt_i64_e32 vcc, s[38:39], v[28:29]
	.loc	1 114 34                        ; triton_scaled_mm_aot.py:114:34
	s_and_saveexec_b64 s[0:1], vcc
	s_cbranch_execz .LBB0_134
; %bb.133:
	global_load_ushort v26, v[2:3], off offset:38
.LBB0_134:
	.loc	1 0 34 is_stmt 0                ; triton_scaled_mm_aot.py:0:34
	s_or_b64 exec, exec, s[0:1]
	.loc	1 49 40 is_stmt 1               ; triton_scaled_mm_aot.py:49:40
	v_or3_b32 v28, v0, v16, 24
	v_mov_b32_e32 v29, v17
	.loc	1 50 28                         ; triton_scaled_mm_aot.py:50:28
	v_cmp_gt_i64_e32 vcc, s[38:39], v[28:29]
	.loc	1 114 34                        ; triton_scaled_mm_aot.py:114:34
	v_mov_b32_e32 v28, 0
	v_mov_b32_e32 v29, v28
	s_and_saveexec_b64 s[0:1], vcc
	s_cbranch_execz .LBB0_136
; %bb.135:
	global_load_ushort v29, v[2:3], off offset:48
.LBB0_136:
	.loc	1 0 34 is_stmt 0                ; triton_scaled_mm_aot.py:0:34
	s_or_b64 exec, exec, s[0:1]
	.loc	1 49 40 is_stmt 1               ; triton_scaled_mm_aot.py:49:40
	v_or3_b32 v30, v0, v16, 25
	v_mov_b32_e32 v31, v17
	.loc	1 50 28                         ; triton_scaled_mm_aot.py:50:28
	v_cmp_gt_i64_e32 vcc, s[38:39], v[30:31]
	.loc	1 114 34                        ; triton_scaled_mm_aot.py:114:34
	s_and_saveexec_b64 s[0:1], vcc
	s_cbranch_execz .LBB0_138
; %bb.137:
	global_load_ushort v28, v[2:3], off offset:50
.LBB0_138:
	.loc	1 0 34 is_stmt 0                ; triton_scaled_mm_aot.py:0:34
	s_or_b64 exec, exec, s[0:1]
	.loc	1 49 40 is_stmt 1               ; triton_scaled_mm_aot.py:49:40
	v_or3_b32 v30, v0, v16, 26
	v_mov_b32_e32 v31, v17
	.loc	1 50 28                         ; triton_scaled_mm_aot.py:50:28
	v_cmp_gt_i64_e32 vcc, s[38:39], v[30:31]
	.loc	1 114 34                        ; triton_scaled_mm_aot.py:114:34
	v_mov_b32_e32 v30, 0
	v_mov_b32_e32 v31, v30
	s_and_saveexec_b64 s[0:1], vcc
	s_cbranch_execz .LBB0_140
; %bb.139:
	global_load_ushort v31, v[2:3], off offset:52
.LBB0_140:
	.loc	1 0 34 is_stmt 0                ; triton_scaled_mm_aot.py:0:34
	s_or_b64 exec, exec, s[0:1]
	.loc	1 49 40 is_stmt 1               ; triton_scaled_mm_aot.py:49:40
	v_or3_b32 v32, v0, v16, 27
	v_mov_b32_e32 v33, v17
	.loc	1 50 28                         ; triton_scaled_mm_aot.py:50:28
	v_cmp_gt_i64_e32 vcc, s[38:39], v[32:33]
	.loc	1 114 34                        ; triton_scaled_mm_aot.py:114:34
	s_and_saveexec_b64 s[0:1], vcc
	s_cbranch_execz .LBB0_142
; %bb.141:
	global_load_ushort v30, v[2:3], off offset:54
.LBB0_142:
	.loc	1 0 34 is_stmt 0                ; triton_scaled_mm_aot.py:0:34
	s_or_b64 exec, exec, s[0:1]
	.loc	1 115 13 is_stmt 1              ; triton_scaled_mm_aot.py:115:13
	s_mov_b32 s0, 0x5040100
	s_waitcnt vmcnt(0)
	v_perm_b32 v0, v12, v13, s0
	v_pk_add_f16 v11, v0, v11
	v_perm_b32 v0, v1, v14, s0
	v_pk_add_f16 v10, v0, v10
	;; [unrolled: 2-line block ×8, first 2 shown]
.LBB0_143:
	.loc	1 46 53                         ; triton_scaled_mm_aot.py:46:53
	s_lshr_b32 s0, s33, 2
	v_or_b32_e32 v0, s0, v20
	v_lshrrev_b32_e32 v1, 2, v56
	v_or_b32_e32 v12, s54, v1
	.loc	1 46 40 is_stmt 0               ; triton_scaled_mm_aot.py:46:40
	v_or_b32_e32 v18, v18, v0
	.loc	1 49 40 is_stmt 1               ; triton_scaled_mm_aot.py:49:40
	v_or_b32_e32 v2, v16, v12
	v_mov_b32_e32 v3, v17
	.loc	1 122 33                        ; triton_scaled_mm_aot.py:122:33
	v_mad_i64_i32 v[0:1], s[0:1], v18, s2, 0
	.loc	1 123 33                        ; triton_scaled_mm_aot.py:123:33
	v_cmp_gt_i64_e32 vcc, s[14:15], v[18:19]
	.loc	1 123 58 is_stmt 0              ; triton_scaled_mm_aot.py:123:58
	v_cmp_gt_i64_e64 s[0:1], s[38:39], v[2:3]
	.loc	1 122 21 is_stmt 1              ; triton_scaled_mm_aot.py:122:21
	v_lshl_add_u64 v[0:1], v[0:1], 1, s[10:11]
	.loc	1 122 64 is_stmt 0              ; triton_scaled_mm_aot.py:122:64
	s_ashr_i32 s2, s3, 31
	.loc	1 123 39 is_stmt 1              ; triton_scaled_mm_aot.py:123:39
	s_and_b64 s[4:5], vcc, s[0:1]
	.loc	1 110 7                         ; triton_scaled_mm_aot.py:110:7
	v_permlane32_swap_b32_e32 v11, v9
	v_permlane32_swap_b32_e32 v10, v8
	;; [unrolled: 1-line block ×4, first 2 shown]
	.loc	1 125 21                        ; triton_scaled_mm_aot.py:125:21
	s_and_saveexec_b64 s[0:1], s[4:5]
	s_cbranch_execz .LBB0_145
; %bb.144:
	.loc	1 122 64                        ; triton_scaled_mm_aot.py:122:64
	v_mul_lo_u32 v13, v3, s3
	v_mul_lo_u32 v14, v2, s2
	v_mad_u64_u32 v[2:3], s[4:5], v2, s3, 0
	v_add3_u32 v3, v3, v14, v13
	.loc	1 122 52 is_stmt 0              ; triton_scaled_mm_aot.py:122:52
	v_lshl_add_u64 v[2:3], v[2:3], 1, v[0:1]
	.loc	1 125 21 is_stmt 1              ; triton_scaled_mm_aot.py:125:21
	global_store_short v[2:3], v11, off
.LBB0_145:
	.loc	1 0 21 is_stmt 0                ; triton_scaled_mm_aot.py:0:21
	s_or_b64 exec, exec, s[0:1]
	.loc	1 49 40 is_stmt 1               ; triton_scaled_mm_aot.py:49:40
	v_or3_b32 v2, v12, v16, 1
	v_mov_b32_e32 v3, v17
	.loc	1 123 58                        ; triton_scaled_mm_aot.py:123:58
	v_cmp_gt_i64_e64 s[0:1], s[38:39], v[2:3]
	.loc	1 123 39 is_stmt 0              ; triton_scaled_mm_aot.py:123:39
	s_and_b64 s[4:5], vcc, s[0:1]
	.loc	1 125 21 is_stmt 1              ; triton_scaled_mm_aot.py:125:21
	s_and_saveexec_b64 s[0:1], s[4:5]
	s_cbranch_execz .LBB0_147
; %bb.146:
	.loc	1 122 64                        ; triton_scaled_mm_aot.py:122:64
	v_mul_lo_u32 v13, v3, s3
	v_mul_lo_u32 v14, v2, s2
	v_mad_u64_u32 v[2:3], s[4:5], v2, s3, 0
	v_add3_u32 v3, v3, v14, v13
	.loc	1 122 52 is_stmt 0              ; triton_scaled_mm_aot.py:122:52
	v_lshl_add_u64 v[2:3], v[2:3], 1, v[0:1]
	.loc	1 125 21 is_stmt 1              ; triton_scaled_mm_aot.py:125:21
	global_store_short_d16_hi v[2:3], v11, off
.LBB0_147:
	.loc	1 0 21 is_stmt 0                ; triton_scaled_mm_aot.py:0:21
	s_or_b64 exec, exec, s[0:1]
	.loc	1 49 40 is_stmt 1               ; triton_scaled_mm_aot.py:49:40
	v_or3_b32 v2, v12, v16, 2
	v_mov_b32_e32 v3, v17
	.loc	1 123 58                        ; triton_scaled_mm_aot.py:123:58
	v_cmp_gt_i64_e64 s[0:1], s[38:39], v[2:3]
	.loc	1 123 39 is_stmt 0              ; triton_scaled_mm_aot.py:123:39
	s_and_b64 s[4:5], vcc, s[0:1]
	.loc	1 125 21 is_stmt 1              ; triton_scaled_mm_aot.py:125:21
	s_and_saveexec_b64 s[0:1], s[4:5]
	s_cbranch_execz .LBB0_149
; %bb.148:
	.loc	1 122 64                        ; triton_scaled_mm_aot.py:122:64
	v_mul_lo_u32 v11, v3, s3
	v_mul_lo_u32 v13, v2, s2
	v_mad_u64_u32 v[2:3], s[4:5], v2, s3, 0
	v_add3_u32 v3, v3, v13, v11
	.loc	1 122 52 is_stmt 0              ; triton_scaled_mm_aot.py:122:52
	v_lshl_add_u64 v[2:3], v[2:3], 1, v[0:1]
	.loc	1 125 21 is_stmt 1              ; triton_scaled_mm_aot.py:125:21
	global_store_short v[2:3], v10, off
.LBB0_149:
	.loc	1 0 21 is_stmt 0                ; triton_scaled_mm_aot.py:0:21
	s_or_b64 exec, exec, s[0:1]
	.loc	1 49 40 is_stmt 1               ; triton_scaled_mm_aot.py:49:40
	v_or3_b32 v2, v12, v16, 3
	v_mov_b32_e32 v3, v17
	.loc	1 123 58                        ; triton_scaled_mm_aot.py:123:58
	v_cmp_gt_i64_e64 s[0:1], s[38:39], v[2:3]
	.loc	1 123 39 is_stmt 0              ; triton_scaled_mm_aot.py:123:39
	s_and_b64 s[4:5], vcc, s[0:1]
	.loc	1 125 21 is_stmt 1              ; triton_scaled_mm_aot.py:125:21
	s_and_saveexec_b64 s[0:1], s[4:5]
	s_cbranch_execz .LBB0_151
; %bb.150:
	.loc	1 122 64                        ; triton_scaled_mm_aot.py:122:64
	v_mul_lo_u32 v11, v3, s3
	v_mul_lo_u32 v13, v2, s2
	v_mad_u64_u32 v[2:3], s[4:5], v2, s3, 0
	v_add3_u32 v3, v3, v13, v11
	.loc	1 122 52 is_stmt 0              ; triton_scaled_mm_aot.py:122:52
	v_lshl_add_u64 v[2:3], v[2:3], 1, v[0:1]
	.loc	1 125 21 is_stmt 1              ; triton_scaled_mm_aot.py:125:21
	global_store_short_d16_hi v[2:3], v10, off
.LBB0_151:
	.loc	1 0 21 is_stmt 0                ; triton_scaled_mm_aot.py:0:21
	s_or_b64 exec, exec, s[0:1]
	.loc	1 49 40 is_stmt 1               ; triton_scaled_mm_aot.py:49:40
	v_or3_b32 v2, v12, v16, 4
	v_mov_b32_e32 v3, v17
	.loc	1 123 58                        ; triton_scaled_mm_aot.py:123:58
	v_cmp_gt_i64_e64 s[0:1], s[38:39], v[2:3]
	.loc	1 123 39 is_stmt 0              ; triton_scaled_mm_aot.py:123:39
	s_and_b64 s[4:5], vcc, s[0:1]
	.loc	1 125 21 is_stmt 1              ; triton_scaled_mm_aot.py:125:21
	;; [unrolled: 46-line block ×7, first 2 shown]
	s_and_saveexec_b64 s[0:1], s[4:5]
	s_cbranch_execz .LBB0_173
; %bb.172:
	.loc	1 122 64                        ; triton_scaled_mm_aot.py:122:64
	v_mul_lo_u32 v5, v3, s3
	v_mul_lo_u32 v6, v2, s2
	v_mad_u64_u32 v[2:3], s[4:5], v2, s3, 0
	v_add3_u32 v3, v3, v6, v5
	.loc	1 122 52 is_stmt 0              ; triton_scaled_mm_aot.py:122:52
	v_lshl_add_u64 v[2:3], v[2:3], 1, v[0:1]
	.loc	1 125 21 is_stmt 1              ; triton_scaled_mm_aot.py:125:21
	global_store_short v[2:3], v4, off
.LBB0_173:
	.loc	1 0 21 is_stmt 0                ; triton_scaled_mm_aot.py:0:21
	s_or_b64 exec, exec, s[0:1]
	.loc	1 49 40 is_stmt 1               ; triton_scaled_mm_aot.py:49:40
	v_or3_b32 v16, v12, v16, 23
	.loc	1 123 58                        ; triton_scaled_mm_aot.py:123:58
	v_cmp_gt_i64_e64 s[0:1], s[38:39], v[16:17]
	.loc	1 123 39 is_stmt 0              ; triton_scaled_mm_aot.py:123:39
	s_and_b64 s[0:1], vcc, s[0:1]
	.loc	1 125 21 is_stmt 1              ; triton_scaled_mm_aot.py:125:21
	s_and_saveexec_b64 s[4:5], s[0:1]
	s_cbranch_execz .LBB0_175
; %bb.174:
	.loc	1 122 64                        ; triton_scaled_mm_aot.py:122:64
	v_mul_lo_u32 v5, v17, s3
	v_mul_lo_u32 v6, v16, s2
	v_mad_u64_u32 v[2:3], s[0:1], v16, s3, 0
	v_add3_u32 v3, v3, v6, v5
	.loc	1 122 52 is_stmt 0              ; triton_scaled_mm_aot.py:122:52
	v_lshl_add_u64 v[0:1], v[2:3], 1, v[0:1]
	.loc	1 125 21 is_stmt 1              ; triton_scaled_mm_aot.py:125:21
	global_store_short_d16_hi v[0:1], v4, off
.LBB0_175:
	.loc	1 125 4 is_stmt 0               ; triton_scaled_mm_aot.py:125:4
	s_endpgm
.LBB0_176:
	.loc	1 0 0                           ; triton_scaled_mm_aot.py:0
	s_waitcnt lgkmcnt(0)
	v_mov_b32_e32 v25, 0
	v_mov_b32_e32 v24, 0
	.loc	1 69 40 is_stmt 1               ; triton_scaled_mm_aot.py:69:40
	s_cmp_lt_i32 s38, 1
	.loc	1 102 45                        ; triton_scaled_mm_aot.py:102:45
	s_cbranch_scc0 .LBB0_108
	s_branch .LBB0_109
.Ltmp9:
	.section	.rodata,"a",@progbits
	.p2align	6, 0x0
	.amdhsa_kernel scaled_mm_kernel
		.amdhsa_group_segment_fixed_size 0
		.amdhsa_private_segment_fixed_size 0
		.amdhsa_kernarg_size 104
		.amdhsa_user_sgpr_count 16
		.amdhsa_user_sgpr_dispatch_ptr 0
		.amdhsa_user_sgpr_queue_ptr 0
		.amdhsa_user_sgpr_kernarg_segment_ptr 1
		.amdhsa_user_sgpr_dispatch_id 0
		.amdhsa_user_sgpr_kernarg_preload_length 14
		.amdhsa_user_sgpr_kernarg_preload_offset 0
		.amdhsa_user_sgpr_private_segment_size 0
		.amdhsa_uses_dynamic_stack 0
		.amdhsa_enable_private_segment 0
		.amdhsa_system_sgpr_workgroup_id_x 1
		.amdhsa_system_sgpr_workgroup_id_y 0
		.amdhsa_system_sgpr_workgroup_id_z 0
		.amdhsa_system_sgpr_workgroup_info 0
		.amdhsa_system_vgpr_workitem_id 0
		.amdhsa_next_free_vgpr 92
		.amdhsa_next_free_sgpr 84
		.amdhsa_accum_offset 92
		.amdhsa_reserve_vcc 1
		.amdhsa_reserve_xnack_mask 1
		.amdhsa_float_round_mode_32 0
		.amdhsa_float_round_mode_16_64 0
		.amdhsa_float_denorm_mode_32 3
		.amdhsa_float_denorm_mode_16_64 3
		.amdhsa_dx10_clamp 1
		.amdhsa_ieee_mode 1
		.amdhsa_fp16_overflow 0
		.amdhsa_tg_split 0
		.amdhsa_exception_fp_ieee_invalid_op 0
		.amdhsa_exception_fp_denorm_src 0
		.amdhsa_exception_fp_ieee_div_zero 0
		.amdhsa_exception_fp_ieee_overflow 0
		.amdhsa_exception_fp_ieee_underflow 0
		.amdhsa_exception_fp_ieee_inexact 0
		.amdhsa_exception_int_div_zero 0
	.end_amdhsa_kernel
	.text
.Lfunc_end0:
	.size	scaled_mm_kernel, .Lfunc_end0-scaled_mm_kernel
	.cfi_endproc
                                        ; -- End function
	.set scaled_mm_kernel.num_vgpr, 92
	.set scaled_mm_kernel.num_agpr, 0
	.set scaled_mm_kernel.numbered_sgpr, 84
	.set scaled_mm_kernel.num_named_barrier, 0
	.set scaled_mm_kernel.private_seg_size, 0
	.set scaled_mm_kernel.uses_vcc, 1
	.set scaled_mm_kernel.uses_flat_scratch, 0
	.set scaled_mm_kernel.has_dyn_sized_stack, 0
	.set scaled_mm_kernel.has_recursion, 0
	.set scaled_mm_kernel.has_indirect_call, 0
	.section	.AMDGPU.csdata,"",@progbits
; Kernel info:
; codeLenInByte = 7476
; TotalNumSgprs: 90
; NumVgprs: 92
; NumAgprs: 0
; TotalNumVgprs: 92
; ScratchSize: 0
; MemoryBound: 0
; FloatMode: 240
; IeeeMode: 1
; LDSByteSize: 0 bytes/workgroup (compile time only)
; SGPRBlocks: 11
; VGPRBlocks: 11
; NumSGPRsForWavesPerEU: 90
; NumVGPRsForWavesPerEU: 92
; AccumOffset: 92
; Occupancy: 5
; WaveLimiterHint : 0
; COMPUTE_PGM_RSRC2:SCRATCH_EN: 0
; COMPUTE_PGM_RSRC2:USER_SGPR: 16
; COMPUTE_PGM_RSRC2:TRAP_HANDLER: 0
; COMPUTE_PGM_RSRC2:TGID_X_EN: 1
; COMPUTE_PGM_RSRC2:TGID_Y_EN: 0
; COMPUTE_PGM_RSRC2:TGID_Z_EN: 0
; COMPUTE_PGM_RSRC2:TIDIG_COMP_CNT: 0
; COMPUTE_PGM_RSRC3_GFX90A:ACCUM_OFFSET: 22
; COMPUTE_PGM_RSRC3_GFX90A:TG_SPLIT: 0
	.text
	.p2alignl 6, 3212836864
	.fill 256, 4, 3212836864
	.section	.AMDGPU.gpr_maximums,"",@progbits
	.set amdgpu.max_num_vgpr, 0
	.set amdgpu.max_num_agpr, 0
	.set amdgpu.max_num_sgpr, 0
	.set amdgpu.max_num_named_barrier, 0
	.text
	.section	.debug_abbrev,"",@progbits
	.byte	1                               ; Abbreviation Code
	.byte	17                              ; DW_TAG_compile_unit
	.byte	1                               ; DW_CHILDREN_yes
	.byte	37                              ; DW_AT_producer
	.byte	14                              ; DW_FORM_strp
	.byte	19                              ; DW_AT_language
	.byte	5                               ; DW_FORM_data2
	.byte	3                               ; DW_AT_name
	.byte	14                              ; DW_FORM_strp
	.byte	16                              ; DW_AT_stmt_list
	.byte	23                              ; DW_FORM_sec_offset
	.byte	27                              ; DW_AT_comp_dir
	.byte	14                              ; DW_FORM_strp
	.byte	17                              ; DW_AT_low_pc
	.byte	1                               ; DW_FORM_addr
	.byte	18                              ; DW_AT_high_pc
	.byte	6                               ; DW_FORM_data4
	.byte	0                               ; EOM(1)
	.byte	0                               ; EOM(2)
	.byte	2                               ; Abbreviation Code
	.byte	46                              ; DW_TAG_subprogram
	.byte	0                               ; DW_CHILDREN_no
	.byte	3                               ; DW_AT_name
	.byte	14                              ; DW_FORM_strp
	.byte	32                              ; DW_AT_inline
	.byte	11                              ; DW_FORM_data1
	.byte	0                               ; EOM(1)
	.byte	0                               ; EOM(2)
	.byte	3                               ; Abbreviation Code
	.byte	46                              ; DW_TAG_subprogram
	.byte	1                               ; DW_CHILDREN_yes
	.byte	17                              ; DW_AT_low_pc
	.byte	1                               ; DW_FORM_addr
	.byte	18                              ; DW_AT_high_pc
	.byte	6                               ; DW_FORM_data4
	.byte	49                              ; DW_AT_abstract_origin
	.byte	19                              ; DW_FORM_ref4
	.byte	0                               ; EOM(1)
	.byte	0                               ; EOM(2)
	.byte	4                               ; Abbreviation Code
	.byte	29                              ; DW_TAG_inlined_subroutine
	.byte	0                               ; DW_CHILDREN_no
	.byte	49                              ; DW_AT_abstract_origin
	.byte	19                              ; DW_FORM_ref4
	.byte	17                              ; DW_AT_low_pc
	.byte	1                               ; DW_FORM_addr
	.byte	18                              ; DW_AT_high_pc
	.byte	6                               ; DW_FORM_data4
	.byte	88                              ; DW_AT_call_file
	.byte	11                              ; DW_FORM_data1
	.byte	89                              ; DW_AT_call_line
	.byte	11                              ; DW_FORM_data1
	.byte	87                              ; DW_AT_call_column
	.byte	11                              ; DW_FORM_data1
	.byte	0                               ; EOM(1)
	.byte	0                               ; EOM(2)
	.byte	5                               ; Abbreviation Code
	.byte	29                              ; DW_TAG_inlined_subroutine
	.byte	0                               ; DW_CHILDREN_no
	.byte	49                              ; DW_AT_abstract_origin
	.byte	19                              ; DW_FORM_ref4
	.byte	85                              ; DW_AT_ranges
	.byte	23                              ; DW_FORM_sec_offset
	.byte	88                              ; DW_AT_call_file
	.byte	11                              ; DW_FORM_data1
	.byte	89                              ; DW_AT_call_line
	.byte	11                              ; DW_FORM_data1
	.byte	87                              ; DW_AT_call_column
	.byte	11                              ; DW_FORM_data1
	.byte	0                               ; EOM(1)
	.byte	0                               ; EOM(2)
	;; [unrolled: 1-line block ×3, first 2 shown]
	.section	.debug_info,"",@progbits
.Lcu_begin0:
	.long	.Ldebug_info_end0-.Ldebug_info_start0 ; Length of Unit
.Ldebug_info_start0:
	.short	4                               ; DWARF version number
	.long	.debug_abbrev                   ; Offset Into Abbrev. Section
	.byte	8                               ; Address Size (in bytes)
	.byte	1                               ; Abbrev [1] 0xb:0x58 DW_TAG_compile_unit
	.long	.Linfo_string0                  ; DW_AT_producer
	.short	2                               ; DW_AT_language
	.long	.Linfo_string1                  ; DW_AT_name
	.long	.Lline_table_start0             ; DW_AT_stmt_list
	.long	.Linfo_string2                  ; DW_AT_comp_dir
	.quad	.Lfunc_begin0                   ; DW_AT_low_pc
	.long	.Lfunc_end0-.Lfunc_begin0       ; DW_AT_high_pc
	.byte	2                               ; Abbrev [2] 0x2a:0x6 DW_TAG_subprogram
	.long	.Linfo_string3                  ; DW_AT_name
	.byte	1                               ; DW_AT_inline
	.byte	3                               ; Abbrev [3] 0x30:0x32 DW_TAG_subprogram
	.quad	.Lfunc_begin0                   ; DW_AT_low_pc
	.long	.Lfunc_end0-.Lfunc_begin0       ; DW_AT_high_pc
	.long	42                              ; DW_AT_abstract_origin
	.byte	4                               ; Abbrev [4] 0x41:0x14 DW_TAG_inlined_subroutine
	.long	42                              ; DW_AT_abstract_origin
	.quad	.Ltmp1                          ; DW_AT_low_pc
	.long	.Ltmp2-.Ltmp1                   ; DW_AT_high_pc
	.byte	1                               ; DW_AT_call_file
	.byte	33                              ; DW_AT_call_line
	.byte	27                              ; DW_AT_call_column
	.byte	5                               ; Abbrev [5] 0x55:0xc DW_TAG_inlined_subroutine
	.long	42                              ; DW_AT_abstract_origin
	.long	.Ldebug_ranges0                 ; DW_AT_ranges
	.byte	1                               ; DW_AT_call_file
	.byte	77                              ; DW_AT_call_line
	.byte	33                              ; DW_AT_call_column
	.byte	0                               ; End Of Children Mark
	.byte	0                               ; End Of Children Mark
.Ldebug_info_end0:
	.section	.debug_ranges,"",@progbits
.Ldebug_ranges0:
	.quad	.Ltmp3-.Lfunc_begin0
	.quad	.Ltmp4-.Lfunc_begin0
	;; [unrolled: 1-line block ×6, first 2 shown]
	.quad	0
	.quad	0
	.section	.debug_str,"MS",@progbits,1
.Linfo_string0:
	.asciz	"triton"                        ; string offset=0
.Linfo_string1:
	.asciz	"triton_scaled_mm_aot.py"       ; string offset=7
.Linfo_string2:
	.asciz	"/root/src/amdgpu-assembly/repos/vllm-project__vllm/triton_aot_kernels" ; string offset=31
.Linfo_string3:
	.asciz	"scaled_mm_kernel"              ; string offset=101
	.section	".note.GNU-stack","",@progbits
	.amdgpu_metadata
---
amdhsa.kernels:
  - .agpr_count:     0
    .args:
      - .address_space:  global
        .offset:         0
        .size:           8
        .value_kind:     global_buffer
      - .address_space:  global
        .offset:         8
        .size:           8
        .value_kind:     global_buffer
      - .address_space:  global
        .offset:         16
        .size:           8
        .value_kind:     global_buffer
      - .address_space:  global
        .offset:         24
        .size:           8
        .value_kind:     global_buffer
      - .address_space:  global
        .offset:         32
        .size:           8
        .value_kind:     global_buffer
      - .address_space:  global
        .offset:         40
        .size:           8
        .value_kind:     global_buffer
      - .offset:         48
        .size:           4
        .value_kind:     by_value
      - .offset:         52
        .size:           4
        .value_kind:     by_value
      - .offset:         56
        .size:           4
        .value_kind:     by_value
      - .offset:         60
        .size:           4
        .value_kind:     by_value
      - .offset:         64
        .size:           4
        .value_kind:     by_value
      - .offset:         68
        .size:           4
        .value_kind:     by_value
      - .offset:         72
        .size:           4
        .value_kind:     by_value
      - .offset:         76
        .size:           4
        .value_kind:     by_value
      - .offset:         80
        .size:           4
        .value_kind:     by_value
      - .address_space:  global
        .offset:         88
        .size:           8
        .value_kind:     global_buffer
      - .address_space:  global
        .offset:         96
        .size:           8
        .value_kind:     global_buffer
    .group_segment_fixed_size: 0
    .kernarg_segment_align: 8
    .kernarg_segment_size: 104
    .max_flat_workgroup_size: 256
    .name:           scaled_mm_kernel
    .private_segment_fixed_size: 0
    .sgpr_count:     90
    .sgpr_spill_count: 0
    .symbol:         scaled_mm_kernel.kd
    .uniform_work_group_size: 1
    .uses_dynamic_stack: false
    .vgpr_count:     92
    .vgpr_spill_count: 0
    .wavefront_size: 64
amdhsa.target:   amdgcn-amd-amdhsa--gfx950
amdhsa.version:
  - 1
  - 2
...

	.end_amdgpu_metadata
	.section	.debug_line,"",@progbits
.Lline_table_start0:
